;; amdgpu-corpus repo=ROCm/rocFFT kind=compiled arch=gfx906 opt=O3
	.text
	.amdgcn_target "amdgcn-amd-amdhsa--gfx906"
	.amdhsa_code_object_version 6
	.protected	bluestein_single_fwd_len350_dim1_half_op_CI_CI ; -- Begin function bluestein_single_fwd_len350_dim1_half_op_CI_CI
	.globl	bluestein_single_fwd_len350_dim1_half_op_CI_CI
	.p2align	8
	.type	bluestein_single_fwd_len350_dim1_half_op_CI_CI,@function
bluestein_single_fwd_len350_dim1_half_op_CI_CI: ; @bluestein_single_fwd_len350_dim1_half_op_CI_CI
; %bb.0:
	s_load_dwordx4 s[8:11], s[4:5], 0x28
	v_mul_u32_u24_e32 v1, 0x51f, v0
	v_add_u32_sdwa v14, s6, v1 dst_sel:DWORD dst_unused:UNUSED_PAD src0_sel:DWORD src1_sel:WORD_1
	v_mov_b32_e32 v15, 0
	s_waitcnt lgkmcnt(0)
	v_cmp_gt_u64_e32 vcc, s[8:9], v[14:15]
	s_and_saveexec_b64 s[0:1], vcc
	s_cbranch_execz .LBB0_23
; %bb.1:
	s_load_dwordx4 s[12:15], s[4:5], 0x18
	s_load_dwordx2 s[16:17], s[4:5], 0x0
	v_mov_b32_e32 v2, 50
	v_mul_lo_u16_sdwa v1, v1, v2 dst_sel:DWORD dst_unused:UNUSED_PAD src0_sel:WORD_1 src1_sel:DWORD
	v_sub_u16_e32 v33, v0, v1
	s_waitcnt lgkmcnt(0)
	s_load_dwordx4 s[0:3], s[12:13], 0x0
	v_lshlrev_b32_e32 v28, 2, v33
	global_load_dword v34, v28, s[16:17]
	v_mov_b32_e32 v7, s17
	s_waitcnt lgkmcnt(0)
	v_mad_u64_u32 v[0:1], s[6:7], s2, v14, 0
	v_mad_u64_u32 v[2:3], s[6:7], s0, v33, 0
	;; [unrolled: 1-line block ×4, first 2 shown]
	v_mov_b32_e32 v1, v4
	v_lshlrev_b64 v[0:1], 2, v[0:1]
	v_mov_b32_e32 v6, s11
	v_mov_b32_e32 v3, v5
	v_add_co_u32_e32 v4, vcc, s10, v0
	v_addc_co_u32_e32 v5, vcc, v6, v1, vcc
	v_lshlrev_b64 v[0:1], 2, v[2:3]
	s_mul_i32 s2, s1, 0x46
	s_mul_hi_u32 s3, s0, 0x46
	v_add_co_u32_e32 v0, vcc, v4, v0
	s_add_i32 s3, s3, s2
	s_mul_i32 s2, s0, 0x46
	v_addc_co_u32_e32 v1, vcc, v5, v1, vcc
	s_lshl_b64 s[2:3], s[2:3], 2
	global_load_dword v2, v[0:1], off
	v_mov_b32_e32 v3, s3
	v_add_co_u32_e32 v0, vcc, s2, v0
	v_addc_co_u32_e32 v1, vcc, v1, v3, vcc
	global_load_dword v4, v[0:1], off
	global_load_dword v32, v28, s[16:17] offset:280
	v_add_co_u32_e32 v0, vcc, s2, v0
	v_addc_co_u32_e32 v1, vcc, v1, v3, vcc
	global_load_dword v5, v[0:1], off
	global_load_dword v31, v28, s[16:17] offset:560
	;; [unrolled: 4-line block ×4, first 2 shown]
	v_add_co_u32_e32 v12, vcc, s16, v28
	v_addc_co_u32_e32 v13, vcc, 0, v7, vcc
	s_load_dwordx2 s[6:7], s[4:5], 0x38
	s_load_dwordx4 s[8:11], s[14:15], 0x0
	v_cmp_gt_u16_e32 vcc, 20, v33
	s_waitcnt vmcnt(8)
	v_lshrrev_b32_e32 v7, 16, v2
	v_mul_f16_sdwa v8, v34, v2 dst_sel:DWORD dst_unused:UNUSED_PAD src0_sel:WORD_1 src1_sel:DWORD
	v_fma_f16 v8, v34, v7, -v8
	v_mul_f16_sdwa v7, v34, v7 dst_sel:DWORD dst_unused:UNUSED_PAD src0_sel:WORD_1 src1_sel:DWORD
	v_fma_f16 v2, v34, v2, v7
	s_waitcnt vmcnt(7)
	v_lshrrev_b32_e32 v9, 16, v4
	s_waitcnt vmcnt(6)
	v_mul_f16_sdwa v10, v32, v4 dst_sel:DWORD dst_unused:UNUSED_PAD src0_sel:WORD_1 src1_sel:DWORD
	v_fma_f16 v7, v32, v9, -v10
	v_mul_f16_sdwa v9, v32, v9 dst_sel:DWORD dst_unused:UNUSED_PAD src0_sel:WORD_1 src1_sel:DWORD
	v_pack_b32_f16 v2, v2, v8
	s_waitcnt vmcnt(5)
	v_lshrrev_b32_e32 v10, 16, v5
	s_waitcnt vmcnt(4)
	v_mul_f16_sdwa v11, v31, v5 dst_sel:DWORD dst_unused:UNUSED_PAD src0_sel:WORD_1 src1_sel:DWORD
	v_fma_f16 v4, v32, v4, v9
	v_fma_f16 v8, v31, v10, -v11
	v_mul_f16_sdwa v9, v31, v10 dst_sel:DWORD dst_unused:UNUSED_PAD src0_sel:WORD_1 src1_sel:DWORD
	s_waitcnt vmcnt(3)
	v_lshrrev_b32_e32 v10, 16, v6
	s_waitcnt vmcnt(2)
	v_mul_f16_sdwa v11, v30, v6 dst_sel:DWORD dst_unused:UNUSED_PAD src0_sel:WORD_1 src1_sel:DWORD
	v_pack_b32_f16 v4, v4, v7
	v_fma_f16 v5, v31, v5, v9
	v_mul_f16_sdwa v7, v30, v10 dst_sel:DWORD dst_unused:UNUSED_PAD src0_sel:WORD_1 src1_sel:DWORD
	v_fma_f16 v9, v30, v10, -v11
	s_waitcnt vmcnt(1)
	v_lshrrev_b32_e32 v10, 16, v3
	s_waitcnt vmcnt(0)
	v_mul_f16_sdwa v11, v29, v3 dst_sel:DWORD dst_unused:UNUSED_PAD src0_sel:WORD_1 src1_sel:DWORD
	ds_write2_b32 v28, v2, v4 offset1:70
	v_pack_b32_f16 v2, v5, v8
	v_fma_f16 v4, v30, v6, v7
	v_mul_f16_sdwa v5, v29, v10 dst_sel:DWORD dst_unused:UNUSED_PAD src0_sel:WORD_1 src1_sel:DWORD
	v_fma_f16 v6, v29, v10, -v11
	v_pack_b32_f16 v4, v4, v9
	v_fma_f16 v3, v29, v3, v5
	ds_write2_b32 v28, v2, v4 offset0:140 offset1:210
	v_pack_b32_f16 v2, v3, v6
	ds_write_b32 v28, v2 offset:1120
	s_and_saveexec_b64 s[12:13], vcc
	s_cbranch_execz .LBB0_3
; %bb.2:
	v_mov_b32_e32 v2, 0xfffffc68
	v_mad_u64_u32 v[0:1], s[14:15], s0, v2, v[0:1]
	s_mulk_i32 s1, 0xfc68
	s_sub_i32 s0, s1, s0
	v_add_u32_e32 v1, s0, v1
	global_load_dword v2, v[0:1], off
	global_load_dword v3, v[12:13], off offset:200
	v_mov_b32_e32 v4, s3
	v_add_co_u32_e64 v0, s[0:1], s2, v0
	v_addc_co_u32_e64 v1, s[0:1], v1, v4, s[0:1]
	global_load_dword v5, v[0:1], off
	global_load_dword v6, v[12:13], off offset:480
	v_add_co_u32_e64 v0, s[0:1], s2, v0
	v_addc_co_u32_e64 v1, s[0:1], v1, v4, s[0:1]
	global_load_dword v7, v[0:1], off
	global_load_dword v8, v[12:13], off offset:760
	;; [unrolled: 4-line block ×4, first 2 shown]
	v_add_u32_e32 v0, 0x200, v28
	s_waitcnt vmcnt(9)
	v_lshrrev_b32_e32 v1, 16, v2
	s_waitcnt vmcnt(8)
	v_mul_f16_sdwa v15, v3, v2 dst_sel:DWORD dst_unused:UNUSED_PAD src0_sel:WORD_1 src1_sel:DWORD
	v_mul_f16_sdwa v16, v3, v1 dst_sel:DWORD dst_unused:UNUSED_PAD src0_sel:WORD_1 src1_sel:DWORD
	v_fma_f16 v1, v3, v1, -v15
	v_fma_f16 v2, v3, v2, v16
	v_pack_b32_f16 v1, v2, v1
	s_waitcnt vmcnt(7)
	v_lshrrev_b32_e32 v15, 16, v5
	s_waitcnt vmcnt(6)
	v_mul_f16_sdwa v17, v6, v5 dst_sel:DWORD dst_unused:UNUSED_PAD src0_sel:WORD_1 src1_sel:DWORD
	v_mul_f16_sdwa v3, v6, v15 dst_sel:DWORD dst_unused:UNUSED_PAD src0_sel:WORD_1 src1_sel:DWORD
	v_fma_f16 v15, v6, v15, -v17
	v_fma_f16 v2, v6, v5, v3
	s_waitcnt vmcnt(5)
	v_lshrrev_b32_e32 v16, 16, v7
	s_waitcnt vmcnt(4)
	v_mul_f16_sdwa v17, v8, v7 dst_sel:DWORD dst_unused:UNUSED_PAD src0_sel:WORD_1 src1_sel:DWORD
	v_mul_f16_sdwa v3, v8, v16 dst_sel:DWORD dst_unused:UNUSED_PAD src0_sel:WORD_1 src1_sel:DWORD
	v_fma_f16 v5, v8, v16, -v17
	v_pack_b32_f16 v2, v2, v15
	s_waitcnt vmcnt(3)
	v_lshrrev_b32_e32 v6, 16, v9
	s_waitcnt vmcnt(2)
	v_mul_f16_sdwa v16, v10, v9 dst_sel:DWORD dst_unused:UNUSED_PAD src0_sel:WORD_1 src1_sel:DWORD
	v_fma_f16 v3, v8, v7, v3
	v_mul_f16_sdwa v7, v10, v6 dst_sel:DWORD dst_unused:UNUSED_PAD src0_sel:WORD_1 src1_sel:DWORD
	v_fma_f16 v6, v10, v6, -v16
	s_waitcnt vmcnt(1)
	v_lshrrev_b32_e32 v8, 16, v4
	s_waitcnt vmcnt(0)
	v_mul_f16_sdwa v15, v11, v4 dst_sel:DWORD dst_unused:UNUSED_PAD src0_sel:WORD_1 src1_sel:DWORD
	ds_write2_b32 v28, v1, v2 offset0:50 offset1:120
	v_pack_b32_f16 v1, v3, v5
	v_fma_f16 v2, v10, v9, v7
	v_mul_f16_sdwa v3, v11, v8 dst_sel:DWORD dst_unused:UNUSED_PAD src0_sel:WORD_1 src1_sel:DWORD
	v_fma_f16 v5, v11, v8, -v15
	v_pack_b32_f16 v2, v2, v6
	v_fma_f16 v3, v11, v4, v3
	ds_write2_b32 v0, v1, v2 offset0:62 offset1:132
	v_pack_b32_f16 v0, v3, v5
	ds_write_b32 v28, v0 offset:1320
.LBB0_3:
	s_or_b64 exec, exec, s[12:13]
	s_waitcnt lgkmcnt(0)
	; wave barrier
	s_waitcnt lgkmcnt(0)
	ds_read2_b32 v[6:7], v28 offset1:70
	ds_read2_b32 v[4:5], v28 offset0:140 offset1:210
	ds_read_b32 v9, v28 offset:1120
	s_load_dwordx2 s[2:3], s[4:5], 0x8
                                        ; implicit-def: $vgpr2
                                        ; implicit-def: $vgpr1
                                        ; implicit-def: $vgpr8
	s_and_saveexec_b64 s[0:1], vcc
	s_cbranch_execz .LBB0_5
; %bb.4:
	v_add_u32_e32 v2, 0x200, v28
	ds_read2_b32 v[0:1], v28 offset0:50 offset1:120
	ds_read2_b32 v[2:3], v2 offset0:62 offset1:132
	ds_read_b32 v8, v28 offset:1320
.LBB0_5:
	s_or_b64 exec, exec, s[0:1]
	v_mul_lo_u16_e32 v15, 5, v33
	s_movk_i32 s12, 0x3b9c
	v_lshlrev_b32_e32 v35, 2, v15
	s_waitcnt lgkmcnt(0)
	v_pk_add_f16 v15, v4, v5
	v_pk_add_f16 v21, v7, v9 neg_lo:[0,1] neg_hi:[0,1]
	s_movk_i32 s13, 0x38b4
	v_pk_fma_f16 v15, v15, 0.5, v6 op_sel_hi:[1,0,1] neg_lo:[1,0,0] neg_hi:[1,0,0]
	v_pk_mul_f16 v20, v21, s12 op_sel_hi:[1,0]
	v_pk_add_f16 v22, v4, v5 neg_lo:[0,1] neg_hi:[0,1]
	v_pk_add_f16 v23, v7, v4 neg_lo:[0,1] neg_hi:[0,1]
	;; [unrolled: 1-line block ×3, first 2 shown]
	v_pk_add_f16 v10, v6, v7
	v_pk_add_f16 v23, v23, v24
	v_pk_add_f16 v24, v15, v20 op_sel:[0,1] op_sel_hi:[1,0]
	v_pk_add_f16 v15, v15, v20 op_sel:[0,1] op_sel_hi:[1,0] neg_lo:[0,1] neg_hi:[0,1]
	v_pk_mul_f16 v20, v22, s13 op_sel_hi:[1,0]
	s_mov_b32 s4, 0xffff
	v_pk_add_f16 v10, v10, v4
	v_pk_add_f16 v24, v24, v20 op_sel:[0,1] op_sel_hi:[1,0]
	v_pk_add_f16 v25, v15, v20 op_sel:[0,1] op_sel_hi:[1,0] neg_lo:[0,1] neg_hi:[0,1]
	s_movk_i32 s5, 0x34f2
	v_pk_add_f16 v10, v10, v5
	v_bfi_b32 v15, s4, v24, v25
	v_pk_add_f16 v16, v1, v8 neg_lo:[0,1] neg_hi:[0,1]
	v_pk_add_f16 v11, v2, v3
	v_pk_add_f16 v10, v10, v9
	v_pk_fma_f16 v15, v23, s5, v15 op_sel_hi:[1,0,1]
	v_pk_add_f16 v17, v2, v3 neg_lo:[0,1] neg_hi:[0,1]
	v_pk_fma_f16 v11, v11, 0.5, v0 op_sel_hi:[1,0,1] neg_lo:[1,0,0] neg_hi:[1,0,0]
	v_pk_mul_f16 v19, v16, s12 op_sel_hi:[1,0]
	s_waitcnt lgkmcnt(0)
	; wave barrier
	ds_write2_b32 v35, v10, v15 offset1:1
	v_pk_add_f16 v10, v1, v2 neg_lo:[0,1] neg_hi:[0,1]
	v_pk_add_f16 v15, v8, v3 neg_lo:[0,1] neg_hi:[0,1]
	v_pk_add_f16 v15, v10, v15
	v_pk_add_f16 v10, v11, v19 op_sel:[0,1] op_sel_hi:[1,0] neg_lo:[0,1] neg_hi:[0,1]
	v_pk_add_f16 v11, v11, v19 op_sel:[0,1] op_sel_hi:[1,0]
	v_pk_add_f16 v19, v7, v9
	v_pk_add_f16 v7, v4, v7 neg_lo:[0,1] neg_hi:[0,1]
	v_pk_mul_f16 v4, v17, s13 op_sel_hi:[1,0]
	v_pk_fma_f16 v6, v19, 0.5, v6 op_sel_hi:[1,0,1] neg_lo:[1,0,0] neg_hi:[1,0,0]
	v_pk_add_f16 v5, v5, v9 neg_lo:[0,1] neg_hi:[0,1]
	v_pk_add_f16 v9, v10, v4 op_sel:[0,1] op_sel_hi:[1,0] neg_lo:[0,1] neg_hi:[0,1]
	v_pk_add_f16 v19, v11, v4 op_sel:[0,1] op_sel_hi:[1,0]
	v_pk_add_f16 v18, v2, v1 neg_lo:[0,1] neg_hi:[0,1]
	v_bfi_b32 v9, s4, v9, v19
	v_pk_add_f16 v19, v3, v8 neg_lo:[0,1] neg_hi:[0,1]
	v_pk_add_f16 v18, v18, v19
	v_pk_add_f16 v19, v1, v8
	v_pk_fma_f16 v19, v19, 0.5, v0 op_sel_hi:[1,0,1] neg_lo:[1,0,0] neg_hi:[1,0,0]
	v_pk_mul_f16 v17, v17, s12 op_sel_hi:[1,0]
	v_pk_add_f16 v5, v7, v5
	v_pk_mul_f16 v7, v22, s12 op_sel_hi:[1,0]
	v_pk_add_f16 v20, v19, v17 op_sel:[0,1] op_sel_hi:[1,0] neg_lo:[0,1] neg_hi:[0,1]
	v_pk_mul_f16 v16, v16, s13 op_sel_hi:[1,0]
	v_pk_add_f16 v22, v6, v7 op_sel:[0,1] op_sel_hi:[1,0] neg_lo:[0,1] neg_hi:[0,1]
	v_pk_add_f16 v6, v6, v7 op_sel:[0,1] op_sel_hi:[1,0]
	v_pk_mul_f16 v7, v21, s13 op_sel_hi:[1,0]
	v_pk_add_f16 v26, v16, v20 op_sel:[1,0] op_sel_hi:[0,1]
	v_pk_fma_f16 v20, v15, s5, v9 op_sel_hi:[1,0,1]
	v_pk_add_f16 v9, v22, v7 op_sel:[0,1] op_sel_hi:[1,0]
	v_pk_add_f16 v6, v6, v7 op_sel:[0,1] op_sel_hi:[1,0] neg_lo:[0,1] neg_hi:[0,1]
	v_pk_add_f16 v17, v17, v19 op_sel:[1,0] op_sel_hi:[0,1]
	v_bfi_b32 v7, s4, v9, v6
	v_bfi_b32 v6, s4, v6, v9
	v_pk_add_f16 v16, v17, v16 op_sel:[0,1] op_sel_hi:[1,0] neg_lo:[0,1] neg_hi:[0,1]
	v_pk_fma_f16 v7, v5, s5, v7 op_sel_hi:[1,0,1]
	v_pk_fma_f16 v5, v5, s5, v6 op_sel_hi:[1,0,1]
	v_add_co_u32_e64 v17, s[0:1], 50, v33
	v_pk_fma_f16 v19, v18, s5, v16 op_sel_hi:[1,0,1]
	v_pk_fma_f16 v18, v18, s5, v26 op_sel_hi:[1,0,1]
	ds_write2_b32 v35, v7, v5 offset0:2 offset1:3
	v_bfi_b32 v5, s4, v25, v24
	v_lshrrev_b32_e32 v27, 16, v18
	v_pk_fma_f16 v5, v23, s5, v5 op_sel_hi:[1,0,1]
	v_mul_u32_u24_e32 v36, 5, v17
	ds_write_b32 v35, v5 offset:16
	s_and_saveexec_b64 s[0:1], vcc
	s_cbranch_execz .LBB0_7
; %bb.6:
	v_alignbit_b32 v4, v4, v4, 16
	v_pk_add_f16 v0, v0, v1
	v_pk_add_f16 v0, v0, v2
	;; [unrolled: 1-line block ×3, first 2 shown]
	v_pk_add_f16 v2, v10, v4 neg_lo:[0,1] neg_hi:[0,1]
	v_pk_mul_f16 v5, v15, s5 op_sel_hi:[1,0]
	v_pk_add_f16 v0, v0, v3
	v_bfi_b32 v1, s4, v1, v2
	v_lshlrev_b32_e32 v6, 2, v36
	v_pk_add_f16 v0, v0, v8
	v_pk_add_f16 v1, v5, v1
	ds_write2_b32 v6, v0, v1 offset1:1
	v_bfi_b32 v0, s4, v18, v19
	s_mov_b32 s4, 0x5040100
	v_perm_b32 v1, v27, v19, s4
	ds_write2_b32 v6, v0, v1 offset0:2 offset1:3
	ds_write_b32 v6, v20 offset:16
.LBB0_7:
	s_or_b64 exec, exec, s[0:1]
	s_movk_i32 s0, 0xcd
	v_mul_lo_u16_sdwa v0, v33, s0 dst_sel:DWORD dst_unused:UNUSED_PAD src0_sel:BYTE_0 src1_sel:DWORD
	v_lshrrev_b16_e32 v10, 10, v0
	v_mul_lo_u16_e32 v0, 5, v10
	v_sub_u16_e32 v0, v33, v0
	v_and_b32_e32 v11, 0xff, v0
	v_mul_u32_u24_e32 v0, 6, v11
	v_lshlrev_b32_e32 v4, 2, v0
	s_waitcnt lgkmcnt(0)
	; wave barrier
	s_waitcnt lgkmcnt(0)
	global_load_dwordx4 v[0:3], v4, s[2:3]
	global_load_dwordx2 v[15:16], v4, s[2:3] offset:16
	ds_read2_b32 v[4:5], v28 offset1:50
	ds_read2_b32 v[6:7], v28 offset0:100 offset1:150
	ds_read2_b32 v[8:9], v28 offset0:200 offset1:250
	ds_read_b32 v17, v28 offset:1200
	s_movk_i32 s0, 0x2b26
	s_waitcnt lgkmcnt(3)
	v_lshrrev_b32_e32 v21, 16, v5
	s_waitcnt lgkmcnt(2)
	v_lshrrev_b32_e32 v22, 16, v6
	v_lshrrev_b32_e32 v23, 16, v7
	s_waitcnt lgkmcnt(1)
	v_lshrrev_b32_e32 v24, 16, v8
	;; [unrolled: 3-line block ×3, first 2 shown]
	s_movk_i32 s4, 0x39e0
	s_mov_b32 s5, 0xb9e0
	s_movk_i32 s1, 0x3b00
	s_waitcnt lgkmcnt(0)
	; wave barrier
	s_waitcnt vmcnt(1)
	v_mul_f16_sdwa v37, v21, v0 dst_sel:DWORD dst_unused:UNUSED_PAD src0_sel:DWORD src1_sel:WORD_1
	v_mul_f16_sdwa v38, v5, v0 dst_sel:DWORD dst_unused:UNUSED_PAD src0_sel:DWORD src1_sel:WORD_1
	;; [unrolled: 1-line block ×8, first 2 shown]
	s_waitcnt vmcnt(0)
	v_mul_f16_sdwa v45, v25, v15 dst_sel:DWORD dst_unused:UNUSED_PAD src0_sel:DWORD src1_sel:WORD_1
	v_mul_f16_sdwa v46, v9, v15 dst_sel:DWORD dst_unused:UNUSED_PAD src0_sel:DWORD src1_sel:WORD_1
	;; [unrolled: 1-line block ×4, first 2 shown]
	v_fma_f16 v6, v6, v1, -v39
	v_fma_f16 v7, v7, v2, -v41
	v_fma_f16 v21, v21, v0, v38
	v_fma_f16 v22, v22, v1, v40
	;; [unrolled: 1-line block ×3, first 2 shown]
	v_fma_f16 v5, v5, v0, -v37
	v_fma_f16 v8, v8, v3, -v43
	v_fma_f16 v24, v24, v3, v44
	v_fma_f16 v9, v9, v15, -v45
	v_fma_f16 v25, v25, v15, v46
	;; [unrolled: 2-line block ×3, first 2 shown]
	v_add_f16_e32 v37, v5, v17
	v_add_f16_e32 v38, v21, v26
	v_sub_f16_e32 v5, v5, v17
	v_sub_f16_e32 v17, v21, v26
	v_add_f16_e32 v21, v6, v9
	v_add_f16_e32 v26, v22, v25
	v_sub_f16_e32 v6, v6, v9
	v_sub_f16_e32 v9, v22, v25
	v_add_f16_e32 v22, v7, v8
	v_add_f16_e32 v25, v23, v24
	v_sub_f16_e32 v7, v8, v7
	v_sub_f16_e32 v8, v24, v23
	v_add_f16_e32 v23, v21, v37
	v_add_f16_e32 v24, v26, v38
	v_sub_f16_e32 v39, v21, v37
	v_sub_f16_e32 v40, v26, v38
	v_sub_f16_e32 v37, v37, v22
	v_sub_f16_e32 v38, v38, v25
	;; [unrolled: 1-line block ×4, first 2 shown]
	v_add_f16_e32 v41, v7, v6
	v_sub_f16_e32 v43, v7, v6
	v_sub_f16_e32 v6, v6, v5
	v_add_f16_e32 v22, v22, v23
	v_add_f16_e32 v23, v25, v24
	v_mul_f16_e32 v24, 0x3a52, v37
	v_mul_f16_e32 v25, 0x3a52, v38
	;; [unrolled: 1-line block ×4, first 2 shown]
	v_add_f16_e32 v42, v8, v9
	v_sub_f16_e32 v44, v8, v9
	v_sub_f16_e32 v7, v5, v7
	;; [unrolled: 1-line block ×3, first 2 shown]
	v_add_f16_e32 v5, v41, v5
	v_mul_f16_e32 v41, 0xb846, v43
	v_fma_f16 v43, v21, s0, v24
	v_fma_f16 v37, v39, s4, -v37
	v_fma_f16 v24, v39, s5, -v24
	v_add_f16_sdwa v39, v4, v23 dst_sel:DWORD dst_unused:UNUSED_PAD src0_sel:WORD_1 src1_sel:DWORD
	v_add_f16_e32 v21, v4, v22
	v_fma_f16 v4, v26, s0, v25
	v_fma_f16 v26, v40, s4, -v38
	v_mul_f16_e32 v38, 0x3b00, v6
	s_movk_i32 s0, 0x3574
	s_mov_b32 s4, 0xb574
	v_sub_f16_e32 v8, v17, v8
	v_add_f16_e32 v17, v42, v17
	v_mul_f16_e32 v42, 0xb846, v44
	v_fma_f16 v25, v40, s5, -v25
	v_fma_f16 v40, v7, s0, v41
	v_fma_f16 v7, v7, s4, -v38
	v_mul_f16_e32 v38, 0x3b00, v9
	s_mov_b32 s5, 0xbcab
	v_fma_f16 v6, v6, s1, -v41
	v_fma_f16 v22, v22, s5, v21
	v_fma_f16 v23, v23, s5, v39
	;; [unrolled: 1-line block ×3, first 2 shown]
	v_fma_f16 v8, v8, s4, -v38
	s_movk_i32 s0, 0x370e
	v_fma_f16 v9, v9, s1, -v42
	v_add_f16_e32 v38, v43, v22
	v_add_f16_e32 v4, v4, v23
	;; [unrolled: 1-line block ×5, first 2 shown]
	v_fma_f16 v46, v5, s0, v40
	v_fma_f16 v47, v17, s0, v41
	v_fma_f16 v6, v5, s0, v6
	v_fma_f16 v5, v5, s0, v7
	v_fma_f16 v7, v17, s0, v8
	v_add_f16_e32 v37, v37, v22
	v_fma_f16 v9, v17, s0, v9
	v_add_f16_e32 v22, v47, v38
	v_sub_f16_e32 v40, v4, v46
	v_add_f16_e32 v23, v7, v44
	v_sub_f16_e32 v41, v45, v5
	;; [unrolled: 2-line block ×3, first 2 shown]
	v_sub_f16_e32 v26, v44, v7
	v_add_f16_e32 v44, v5, v45
	v_add_f16_e32 v45, v46, v4
	v_mul_u32_u24_e32 v4, 35, v10
	v_sub_f16_e32 v24, v37, v9
	v_sub_f16_e32 v17, v38, v47
	v_add_lshl_u32 v38, v4, v11, 2
	v_pack_b32_f16 v4, v21, v39
	v_pack_b32_f16 v5, v22, v40
	v_add_f16_e32 v25, v9, v37
	ds_write2_b32 v38, v4, v5 offset1:5
	v_pack_b32_f16 v4, v23, v41
	v_pack_b32_f16 v5, v24, v42
	ds_write2_b32 v38, v4, v5 offset0:10 offset1:15
	v_pack_b32_f16 v4, v25, v43
	v_pack_b32_f16 v5, v26, v44
	ds_write2_b32 v38, v4, v5 offset0:20 offset1:25
	v_pack_b32_f16 v4, v17, v45
	v_cmp_gt_u16_e64 s[0:1], 35, v33
	ds_write_b32 v38, v4 offset:120
	s_waitcnt lgkmcnt(0)
	; wave barrier
	s_waitcnt lgkmcnt(0)
	s_and_saveexec_b64 s[4:5], s[0:1]
	s_cbranch_execz .LBB0_9
; %bb.8:
	v_add_u32_e32 v4, 0x400, v28
	ds_read2_b32 v[21:22], v28 offset1:35
	ds_read2_b32 v[23:24], v28 offset0:70 offset1:105
	ds_read2_b32 v[25:26], v28 offset0:140 offset1:175
	;; [unrolled: 1-line block ×4, first 2 shown]
	s_mov_b32 s12, 0xffff
	s_waitcnt lgkmcnt(4)
	v_lshrrev_b32_e32 v39, 16, v21
	v_lshrrev_b32_e32 v40, 16, v22
	s_waitcnt lgkmcnt(3)
	v_lshrrev_b32_e32 v41, 16, v23
	v_lshrrev_b32_e32 v42, 16, v24
	;; [unrolled: 3-line block ×3, first 2 shown]
	s_waitcnt lgkmcnt(1)
	v_lshrrev_b32_e32 v45, 16, v17
	s_waitcnt lgkmcnt(0)
	v_lshrrev_b32_e32 v27, 16, v19
	v_bfi_b32 v19, s12, v19, v18
.LBB0_9:
	s_or_b64 exec, exec, s[4:5]
	v_subrev_u32_e32 v4, 35, v33
	v_cndmask_b32_e64 v4, v4, v33, s[0:1]
	v_mul_hi_i32_i24_e32 v5, 36, v4
	v_mul_i32_i24_e32 v4, 36, v4
	v_mov_b32_e32 v6, s3
	v_add_co_u32_e64 v46, s[2:3], s2, v4
	v_addc_co_u32_e64 v47, s[2:3], v6, v5, s[2:3]
	global_load_dwordx4 v[4:7], v[46:47], off offset:120
	global_load_dwordx4 v[8:11], v[46:47], off offset:136
	global_load_dword v37, v[46:47], off offset:152
	v_lshrrev_b32_e32 v46, 16, v19
	v_lshrrev_b32_e32 v47, 16, v20
	s_movk_i32 s2, 0x3b9c
	s_mov_b32 s5, 0xbb9c
	s_movk_i32 s3, 0x38b4
	s_mov_b32 s12, 0xb8b4
	s_movk_i32 s4, 0x34f2
	s_movk_i32 s13, 0x3a79
	s_waitcnt vmcnt(2)
	v_mul_f16_sdwa v48, v40, v4 dst_sel:DWORD dst_unused:UNUSED_PAD src0_sel:DWORD src1_sel:WORD_1
	v_mul_f16_sdwa v49, v22, v4 dst_sel:DWORD dst_unused:UNUSED_PAD src0_sel:DWORD src1_sel:WORD_1
	v_mul_f16_sdwa v50, v41, v5 dst_sel:DWORD dst_unused:UNUSED_PAD src0_sel:DWORD src1_sel:WORD_1
	v_mul_f16_sdwa v54, v43, v7 dst_sel:DWORD dst_unused:UNUSED_PAD src0_sel:DWORD src1_sel:WORD_1
	s_waitcnt vmcnt(1)
	v_mul_f16_sdwa v58, v45, v9 dst_sel:DWORD dst_unused:UNUSED_PAD src0_sel:DWORD src1_sel:WORD_1
	v_mul_f16_sdwa v62, v27, v11 dst_sel:DWORD dst_unused:UNUSED_PAD src0_sel:DWORD src1_sel:WORD_1
	;; [unrolled: 1-line block ×9, first 2 shown]
	s_waitcnt vmcnt(0)
	v_mul_f16_sdwa v65, v20, v37 dst_sel:DWORD dst_unused:UNUSED_PAD src0_sel:DWORD src1_sel:WORD_1
	v_fma_f16 v23, v23, v5, -v50
	v_fma_f16 v40, v40, v4, v49
	v_fma_f16 v49, v22, v4, -v48
	v_fma_f16 v48, v25, v7, -v54
	;; [unrolled: 1-line block ×4, first 2 shown]
	v_mul_f16_sdwa v56, v44, v8 dst_sel:DWORD dst_unused:UNUSED_PAD src0_sel:DWORD src1_sel:WORD_1
	v_mul_f16_sdwa v57, v26, v8 dst_sel:DWORD dst_unused:UNUSED_PAD src0_sel:DWORD src1_sel:WORD_1
	;; [unrolled: 1-line block ×4, first 2 shown]
	v_fma_f16 v50, v24, v6, -v52
	v_fma_f16 v41, v41, v5, v51
	v_fma_f16 v42, v42, v6, v53
	;; [unrolled: 1-line block ×7, first 2 shown]
	v_add_f16_e32 v22, v21, v23
	v_add_f16_e32 v24, v48, v17
	;; [unrolled: 1-line block ×3, first 2 shown]
	v_fma_f16 v51, v26, v8, -v56
	v_fma_f16 v44, v44, v8, v57
	v_sub_f16_e32 v25, v41, v46
	v_sub_f16_e32 v26, v43, v52
	;; [unrolled: 1-line block ×6, first 2 shown]
	v_add_f16_e32 v57, v39, v41
	v_sub_f16_e32 v59, v23, v19
	v_add_f16_e32 v22, v22, v48
	v_fma_f16 v23, v24, -0.5, v21
	v_fma_f16 v21, v47, -0.5, v21
	v_add_f16_e32 v58, v43, v52
	v_add_f16_e32 v27, v27, v45
	;; [unrolled: 1-line block ×5, first 2 shown]
	v_fma_f16 v55, v25, s2, v23
	v_fma_f16 v23, v25, s5, v23
	;; [unrolled: 1-line block ×4, first 2 shown]
	v_fma_f16 v47, v58, -0.5, v39
	v_add_f16_e32 v21, v22, v19
	v_fma_f16 v19, v26, s3, v55
	v_fma_f16 v23, v26, s12, v23
	;; [unrolled: 1-line block ×9, first 2 shown]
	v_sub_f16_e32 v17, v48, v17
	v_sub_f16_e32 v27, v41, v43
	;; [unrolled: 1-line block ×3, first 2 shown]
	v_fma_f16 v19, v17, s12, v58
	v_add_f16_e32 v45, v27, v45
	v_fma_f16 v27, v45, s4, v19
	v_fma_f16 v19, v59, s2, v47
	;; [unrolled: 1-line block ×4, first 2 shown]
	v_add_f16_e32 v19, v41, v46
	v_fma_f16 v19, v19, -0.5, v39
	v_fma_f16 v39, v17, s2, v19
	v_sub_f16_e32 v41, v43, v41
	v_sub_f16_e32 v43, v52, v46
	v_fma_f16 v17, v17, s5, v19
	v_add_f16_e32 v41, v41, v43
	v_fma_f16 v17, v59, s3, v17
	v_fma_f16 v48, v41, s4, v17
	v_add_f16_e32 v17, v49, v50
	v_fma_f16 v18, v18, v10, -v60
	v_add_f16_e32 v17, v17, v51
	v_fma_f16 v20, v20, v37, -v64
	v_add_f16_e32 v17, v17, v18
	v_add_f16_e32 v47, v17, v20
	;; [unrolled: 1-line block ×4, first 2 shown]
	v_fma_f16 v39, v59, s12, v39
	v_fma_f16 v17, v17, -0.5, v49
	v_sub_f16_e32 v19, v42, v54
	v_add_f16_e32 v24, v24, v46
	v_fma_f16 v46, v41, s4, v39
	v_fma_f16 v39, v19, s2, v17
	v_sub_f16_e32 v41, v44, v53
	v_sub_f16_e32 v43, v50, v51
	;; [unrolled: 1-line block ×3, first 2 shown]
	v_fma_f16 v17, v19, s5, v17
	v_fma_f16 v39, v41, s3, v39
	v_add_f16_e32 v43, v43, v52
	v_fma_f16 v17, v41, s12, v17
	v_fma_f16 v39, v43, s4, v39
	;; [unrolled: 1-line block ×3, first 2 shown]
	v_add_f16_e32 v43, v50, v20
	v_fma_f16 v43, v43, -0.5, v49
	v_fma_f16 v49, v41, s5, v43
	v_fma_f16 v41, v41, s2, v43
	;; [unrolled: 1-line block ×4, first 2 shown]
	v_add_f16_e32 v41, v40, v42
	v_sub_f16_e32 v52, v51, v50
	v_sub_f16_e32 v55, v18, v20
	v_add_f16_e32 v41, v41, v44
	v_add_f16_e32 v52, v52, v55
	v_add_f16_e32 v41, v41, v53
	v_fma_f16 v55, v52, s4, v49
	v_add_f16_e32 v49, v41, v54
	v_add_f16_e32 v41, v44, v53
	v_fma_f16 v41, v41, -0.5, v40
	v_sub_f16_e32 v20, v50, v20
	v_fma_f16 v43, v20, s5, v41
	v_sub_f16_e32 v18, v51, v18
	v_sub_f16_e32 v50, v42, v44
	;; [unrolled: 1-line block ×3, first 2 shown]
	v_fma_f16 v41, v20, s2, v41
	v_fma_f16 v43, v18, s12, v43
	v_add_f16_e32 v50, v50, v51
	v_fma_f16 v41, v18, s3, v41
	v_fma_f16 v43, v50, s4, v43
	;; [unrolled: 1-line block ×3, first 2 shown]
	v_add_f16_e32 v50, v42, v54
	v_fma_f16 v40, v50, -0.5, v40
	v_fma_f16 v50, v18, s2, v40
	v_sub_f16_e32 v42, v44, v42
	v_sub_f16_e32 v44, v53, v54
	v_fma_f16 v50, v20, s12, v50
	v_add_f16_e32 v42, v42, v44
	v_fma_f16 v18, v18, s5, v40
	v_fma_f16 v44, v42, s4, v50
	;; [unrolled: 1-line block ×3, first 2 shown]
	v_mul_f16_e32 v20, 0x38b4, v43
	v_fma_f16 v19, v52, s4, v19
	v_fma_f16 v50, v39, s13, v20
	v_mul_f16_e32 v20, 0x3b9c, v44
	v_fma_f16 v18, v42, s4, v18
	v_fma_f16 v51, v55, s4, v20
	v_mul_f16_e32 v20, 0x34f2, v19
	v_fma_f16 v52, v18, s2, -v20
	v_mul_f16_e32 v20, 0x3a79, v17
	v_fma_f16 v53, v41, s3, -v20
	v_mul_f16_e32 v20, 0xb8b4, v39
	v_mul_f16_e32 v18, 0x34f2, v18
	v_fma_f16 v54, v43, s13, v20
	v_mul_f16_e32 v20, 0xbb9c, v55
	v_fma_f16 v56, v19, s5, -v18
	v_mul_f16_e32 v18, 0x3a79, v41
	v_fma_f16 v55, v44, s4, v20
	v_fma_f16 v57, v17, s12, -v18
	v_sub_f16_e32 v17, v21, v47
	v_sub_f16_e32 v18, v22, v50
	;; [unrolled: 1-line block ×10, first 2 shown]
	s_and_saveexec_b64 s[2:3], s[0:1]
	s_cbranch_execz .LBB0_11
; %bb.10:
	v_add_f16_e32 v27, v27, v54
	v_add_f16_e32 v24, v24, v49
	;; [unrolled: 1-line block ×8, first 2 shown]
	v_pack_b32_f16 v21, v21, v24
	v_pack_b32_f16 v22, v22, v27
	v_add_f16_e32 v45, v45, v57
	v_add_f16_e32 v25, v25, v53
	ds_write2_b32 v28, v21, v22 offset1:35
	v_pack_b32_f16 v21, v23, v46
	v_pack_b32_f16 v22, v26, v48
	s_mov_b32 s4, 0x5040100
	ds_write2_b32 v28, v21, v22 offset0:70 offset1:105
	v_pack_b32_f16 v21, v25, v45
	v_perm_b32 v22, v40, v17, s4
	ds_write2_b32 v28, v21, v22 offset0:140 offset1:175
	v_perm_b32 v21, v41, v18, s4
	v_perm_b32 v22, v42, v19, s4
	ds_write2_b32 v28, v21, v22 offset0:210 offset1:245
	v_perm_b32 v21, v43, v20, s4
	v_perm_b32 v22, v44, v39, s4
	v_add_u32_e32 v23, 0x400, v28
	ds_write2_b32 v23, v21, v22 offset0:24 offset1:59
.LBB0_11:
	s_or_b64 exec, exec, s[2:3]
	s_waitcnt lgkmcnt(0)
	; wave barrier
	s_waitcnt lgkmcnt(0)
	global_load_dword v23, v[12:13], off offset:1400
	s_add_u32 s12, s16, 0x578
	s_addc_u32 s13, s17, 0
	global_load_dword v24, v28, s[12:13] offset:280
	global_load_dword v25, v28, s[12:13] offset:560
	;; [unrolled: 1-line block ×4, first 2 shown]
	ds_read2_b32 v[21:22], v28 offset1:70
	s_waitcnt lgkmcnt(0)
	v_lshrrev_b32_e32 v45, 16, v21
	v_lshrrev_b32_e32 v46, 16, v22
	s_waitcnt vmcnt(4)
	v_mul_f16_sdwa v47, v45, v23 dst_sel:DWORD dst_unused:UNUSED_PAD src0_sel:DWORD src1_sel:WORD_1
	v_mul_f16_sdwa v48, v21, v23 dst_sel:DWORD dst_unused:UNUSED_PAD src0_sel:DWORD src1_sel:WORD_1
	v_fma_f16 v21, v21, v23, -v47
	v_fma_f16 v23, v45, v23, v48
	v_pack_b32_f16 v21, v21, v23
	s_waitcnt vmcnt(3)
	v_mul_f16_sdwa v23, v46, v24 dst_sel:DWORD dst_unused:UNUSED_PAD src0_sel:DWORD src1_sel:WORD_1
	v_mul_f16_sdwa v45, v22, v24 dst_sel:DWORD dst_unused:UNUSED_PAD src0_sel:DWORD src1_sel:WORD_1
	v_fma_f16 v22, v22, v24, -v23
	v_fma_f16 v23, v46, v24, v45
	v_pack_b32_f16 v22, v22, v23
	ds_write2_b32 v28, v21, v22 offset1:70
	ds_read2_b32 v[21:22], v28 offset0:140 offset1:210
	ds_read_b32 v23, v28 offset:1120
	s_waitcnt lgkmcnt(1)
	v_lshrrev_b32_e32 v24, 16, v21
	s_waitcnt vmcnt(2)
	v_mul_f16_sdwa v45, v21, v25 dst_sel:DWORD dst_unused:UNUSED_PAD src0_sel:DWORD src1_sel:WORD_1
	v_lshrrev_b32_e32 v46, 16, v22
	s_waitcnt vmcnt(1)
	v_mul_f16_sdwa v47, v22, v26 dst_sel:DWORD dst_unused:UNUSED_PAD src0_sel:DWORD src1_sel:WORD_1
	s_waitcnt lgkmcnt(0)
	v_lshrrev_b32_e32 v48, 16, v23
	v_mul_f16_sdwa v50, v24, v25 dst_sel:DWORD dst_unused:UNUSED_PAD src0_sel:DWORD src1_sel:WORD_1
	v_fma_f16 v24, v24, v25, v45
	v_mul_f16_sdwa v45, v46, v26 dst_sel:DWORD dst_unused:UNUSED_PAD src0_sel:DWORD src1_sel:WORD_1
	s_waitcnt vmcnt(0)
	v_mul_f16_sdwa v49, v23, v27 dst_sel:DWORD dst_unused:UNUSED_PAD src0_sel:DWORD src1_sel:WORD_1
	v_fma_f16 v46, v46, v26, v47
	v_mul_f16_sdwa v47, v48, v27 dst_sel:DWORD dst_unused:UNUSED_PAD src0_sel:DWORD src1_sel:WORD_1
	v_fma_f16 v21, v21, v25, -v50
	v_fma_f16 v22, v22, v26, -v45
	v_fma_f16 v48, v48, v27, v49
	v_fma_f16 v23, v23, v27, -v47
	v_pack_b32_f16 v21, v21, v24
	v_pack_b32_f16 v22, v22, v46
	;; [unrolled: 1-line block ×3, first 2 shown]
	ds_write2_b32 v28, v21, v22 offset0:140 offset1:210
	ds_write_b32 v28, v23 offset:1120
	s_and_saveexec_b64 s[4:5], vcc
	s_cbranch_execz .LBB0_13
; %bb.12:
	v_add_co_u32_e64 v21, s[2:3], s12, v28
	v_mov_b32_e32 v22, s13
	v_addc_co_u32_e64 v22, s[2:3], 0, v22, s[2:3]
	global_load_dword v26, v[21:22], off offset:200
	ds_read2_b32 v[23:24], v28 offset0:50 offset1:120
	s_waitcnt lgkmcnt(0)
	v_lshrrev_b32_e32 v25, 16, v23
	s_waitcnt vmcnt(0)
	v_mul_f16_sdwa v27, v25, v26 dst_sel:DWORD dst_unused:UNUSED_PAD src0_sel:DWORD src1_sel:WORD_1
	v_fma_f16 v27, v23, v26, -v27
	v_mul_f16_sdwa v23, v23, v26 dst_sel:DWORD dst_unused:UNUSED_PAD src0_sel:DWORD src1_sel:WORD_1
	v_fma_f16 v23, v25, v26, v23
	global_load_dword v26, v[21:22], off offset:480
	v_lshrrev_b32_e32 v25, 16, v24
	v_pack_b32_f16 v23, v27, v23
	s_waitcnt vmcnt(0)
	v_mul_f16_sdwa v27, v25, v26 dst_sel:DWORD dst_unused:UNUSED_PAD src0_sel:DWORD src1_sel:WORD_1
	v_fma_f16 v27, v24, v26, -v27
	v_mul_f16_sdwa v24, v24, v26 dst_sel:DWORD dst_unused:UNUSED_PAD src0_sel:DWORD src1_sel:WORD_1
	v_fma_f16 v24, v25, v26, v24
	v_pack_b32_f16 v24, v27, v24
	global_load_dword v27, v[21:22], off offset:760
	v_add_u32_e32 v25, 0x200, v28
	ds_write2_b32 v28, v23, v24 offset0:50 offset1:120
	ds_read2_b32 v[23:24], v25 offset0:62 offset1:132
	s_waitcnt lgkmcnt(0)
	v_lshrrev_b32_e32 v26, 16, v23
	s_waitcnt vmcnt(0)
	v_mul_f16_sdwa v45, v26, v27 dst_sel:DWORD dst_unused:UNUSED_PAD src0_sel:DWORD src1_sel:WORD_1
	v_fma_f16 v45, v23, v27, -v45
	v_mul_f16_sdwa v23, v23, v27 dst_sel:DWORD dst_unused:UNUSED_PAD src0_sel:DWORD src1_sel:WORD_1
	v_fma_f16 v23, v26, v27, v23
	global_load_dword v27, v[21:22], off offset:1040
	v_lshrrev_b32_e32 v26, 16, v24
	global_load_dword v21, v[21:22], off offset:1320
	v_pack_b32_f16 v23, v45, v23
	s_waitcnt vmcnt(1)
	v_mul_f16_sdwa v45, v26, v27 dst_sel:DWORD dst_unused:UNUSED_PAD src0_sel:DWORD src1_sel:WORD_1
	v_fma_f16 v45, v24, v27, -v45
	v_mul_f16_sdwa v24, v24, v27 dst_sel:DWORD dst_unused:UNUSED_PAD src0_sel:DWORD src1_sel:WORD_1
	v_fma_f16 v24, v26, v27, v24
	v_pack_b32_f16 v24, v45, v24
	ds_write2_b32 v25, v23, v24 offset0:62 offset1:132
	ds_read_b32 v23, v28 offset:1320
	s_waitcnt lgkmcnt(0)
	v_lshrrev_b32_e32 v24, 16, v23
	s_waitcnt vmcnt(0)
	v_mul_f16_sdwa v22, v24, v21 dst_sel:DWORD dst_unused:UNUSED_PAD src0_sel:DWORD src1_sel:WORD_1
	v_fma_f16 v22, v23, v21, -v22
	v_mul_f16_sdwa v23, v23, v21 dst_sel:DWORD dst_unused:UNUSED_PAD src0_sel:DWORD src1_sel:WORD_1
	v_fma_f16 v21, v24, v21, v23
	v_pack_b32_f16 v21, v22, v21
	ds_write_b32 v28, v21 offset:1320
.LBB0_13:
	s_or_b64 exec, exec, s[4:5]
	s_waitcnt lgkmcnt(0)
	; wave barrier
	s_waitcnt lgkmcnt(0)
	ds_read2_b32 v[24:25], v28 offset1:70
	ds_read2_b32 v[26:27], v28 offset0:140 offset1:210
	ds_read_b32 v48, v28 offset:1120
	s_and_saveexec_b64 s[2:3], vcc
	s_cbranch_execz .LBB0_15
; %bb.14:
	v_add_u32_e32 v19, 0x200, v28
	ds_read2_b32 v[17:18], v28 offset0:50 offset1:120
	ds_read2_b32 v[19:20], v19 offset0:62 offset1:132
	ds_read_b32 v39, v28 offset:1320
	s_waitcnt lgkmcnt(2)
	v_lshrrev_b32_e32 v40, 16, v17
	v_lshrrev_b32_e32 v41, 16, v18
	s_waitcnt lgkmcnt(1)
	v_lshrrev_b32_e32 v42, 16, v19
	v_lshrrev_b32_e32 v43, 16, v20
	s_waitcnt lgkmcnt(0)
	v_lshrrev_b32_e32 v44, 16, v39
.LBB0_15:
	s_or_b64 exec, exec, s[2:3]
	v_add_f16_e32 v21, v19, v20
	v_fma_f16 v49, v21, -0.5, v17
	v_sub_f16_e32 v50, v41, v44
	s_movk_i32 s2, 0x3b9c
	v_sub_f16_e32 v21, v18, v19
	v_sub_f16_e32 v22, v39, v20
	;; [unrolled: 1-line block ×3, first 2 shown]
	s_movk_i32 s3, 0x38b4
	v_add_f16_e32 v52, v21, v22
	v_fma_f16 v21, v50, s2, v49
	s_movk_i32 s4, 0x34f2
	v_fma_f16 v21, v51, s3, v21
	v_fma_f16 v23, v52, s4, v21
	v_add_f16_e32 v21, v18, v39
	v_fma_f16 v22, v21, -0.5, v17
	s_mov_b32 s12, 0xbb9c
	v_fma_f16 v21, v51, s2, v22
	s_mov_b32 s5, 0xb8b4
	v_sub_f16_e32 v45, v19, v18
	v_sub_f16_e32 v46, v20, v39
	v_fma_f16 v22, v51, s12, v22
	v_fma_f16 v21, v50, s5, v21
	v_add_f16_e32 v45, v45, v46
	v_fma_f16 v22, v50, s3, v22
	v_fma_f16 v21, v45, s4, v21
	;; [unrolled: 1-line block ×3, first 2 shown]
	v_add_f16_e32 v45, v42, v43
	v_fma_f16 v53, v45, -0.5, v40
	v_sub_f16_e32 v54, v18, v39
	v_sub_f16_e32 v45, v41, v42
	;; [unrolled: 1-line block ×4, first 2 shown]
	v_add_f16_e32 v56, v45, v46
	v_fma_f16 v45, v54, s12, v53
	v_fma_f16 v45, v55, s5, v45
	;; [unrolled: 1-line block ×3, first 2 shown]
	v_add_f16_e32 v45, v41, v44
	v_fma_f16 v47, v45, -0.5, v40
	v_fma_f16 v45, v55, s12, v47
	v_sub_f16_e32 v58, v42, v41
	v_sub_f16_e32 v59, v43, v44
	v_fma_f16 v47, v55, s2, v47
	v_fma_f16 v45, v54, s3, v45
	v_add_f16_e32 v58, v58, v59
	v_fma_f16 v47, v54, s5, v47
	v_fma_f16 v45, v58, s4, v45
	;; [unrolled: 1-line block ×3, first 2 shown]
	s_waitcnt lgkmcnt(1)
	v_pk_add_f16 v58, v26, v27
	s_waitcnt lgkmcnt(0)
	v_pk_add_f16 v59, v25, v48 neg_lo:[0,1] neg_hi:[0,1]
	v_pk_fma_f16 v58, v58, 0.5, v24 op_sel_hi:[1,0,1] neg_lo:[1,0,0] neg_hi:[1,0,0]
	v_pk_mul_f16 v60, v59, s2 op_sel_hi:[1,0]
	v_pk_add_f16 v61, v26, v27 neg_lo:[0,1] neg_hi:[0,1]
	v_pk_add_f16 v63, v25, v26 neg_lo:[0,1] neg_hi:[0,1]
	;; [unrolled: 1-line block ×3, first 2 shown]
	v_pk_add_f16 v57, v24, v25
	v_pk_mul_f16 v62, v61, s3 op_sel_hi:[1,0]
	v_pk_add_f16 v63, v63, v64
	v_pk_add_f16 v64, v58, v60 op_sel:[0,1] op_sel_hi:[1,0] neg_lo:[0,1] neg_hi:[0,1]
	v_pk_add_f16 v58, v58, v60 op_sel:[0,1] op_sel_hi:[1,0]
	v_pk_add_f16 v57, v57, v26
	v_pk_add_f16 v60, v64, v62 op_sel:[0,1] op_sel_hi:[1,0] neg_lo:[0,1] neg_hi:[0,1]
	s_mov_b32 s5, 0xffff
	v_pk_add_f16 v58, v58, v62 op_sel:[0,1] op_sel_hi:[1,0]
	v_pk_add_f16 v57, v57, v27
	v_bfi_b32 v62, s5, v60, v58
	v_pk_add_f16 v57, v57, v48
	v_pk_fma_f16 v62, v63, s4, v62 op_sel_hi:[1,0,1]
	s_waitcnt lgkmcnt(0)
	; wave barrier
	ds_write2_b32 v35, v57, v62 offset1:1
	v_pk_add_f16 v57, v25, v48
	v_pk_add_f16 v25, v26, v25 neg_lo:[0,1] neg_hi:[0,1]
	v_pk_add_f16 v26, v27, v48 neg_lo:[0,1] neg_hi:[0,1]
	v_pk_fma_f16 v24, v57, 0.5, v24 op_sel_hi:[1,0,1] neg_lo:[1,0,0] neg_hi:[1,0,0]
	v_pk_add_f16 v25, v25, v26
	v_pk_mul_f16 v26, v61, s2 op_sel_hi:[1,0]
	v_pk_mul_f16 v27, v59, s3 op_sel_hi:[1,0]
	v_pk_add_f16 v48, v24, v26 op_sel:[0,1] op_sel_hi:[1,0]
	v_pk_add_f16 v24, v24, v26 op_sel:[0,1] op_sel_hi:[1,0] neg_lo:[0,1] neg_hi:[0,1]
	v_pk_add_f16 v26, v48, v27 op_sel:[0,1] op_sel_hi:[1,0] neg_lo:[0,1] neg_hi:[0,1]
	v_pk_add_f16 v24, v24, v27 op_sel:[0,1] op_sel_hi:[1,0]
	v_bfi_b32 v27, s5, v26, v24
	v_bfi_b32 v24, s5, v24, v26
	v_pk_fma_f16 v27, v25, s4, v27 op_sel_hi:[1,0,1]
	v_pk_fma_f16 v24, v25, s4, v24 op_sel_hi:[1,0,1]
	ds_write2_b32 v35, v27, v24 offset0:2 offset1:3
	v_bfi_b32 v24, s5, v58, v60
	v_pk_fma_f16 v24, v63, s4, v24 op_sel_hi:[1,0,1]
	ds_write_b32 v35, v24 offset:16
	s_and_saveexec_b64 s[2:3], vcc
	s_cbranch_execz .LBB0_17
; %bb.16:
	v_mul_f16_e32 v27, 0x3b9c, v54
	v_mul_f16_e32 v35, 0x38b4, v55
	v_add_f16_e32 v27, v27, v53
	v_mul_f16_e32 v24, 0x3b9c, v50
	v_add_f16_e32 v27, v35, v27
	v_add_f16_e32 v35, v40, v41
	;; [unrolled: 1-line block ×3, first 2 shown]
	v_mul_f16_e32 v25, 0x38b4, v51
	v_add_f16_e32 v35, v35, v42
	v_sub_f16_e32 v24, v49, v24
	v_add_f16_e32 v17, v17, v19
	v_mul_f16_e32 v26, 0x34f2, v52
	v_mul_f16_e32 v48, 0x34f2, v56
	v_add_f16_e32 v35, v35, v43
	v_sub_f16_e32 v24, v24, v25
	v_add_f16_e32 v17, v17, v20
	v_add_f16_e32 v27, v48, v27
	v_add_f16_e32 v35, v35, v44
	v_add_f16_e32 v24, v26, v24
	v_add_f16_e32 v17, v17, v39
	v_lshlrev_b32_e32 v18, 2, v36
	v_pack_b32_f16 v19, v24, v27
	v_pack_b32_f16 v17, v17, v35
	s_mov_b32 s4, 0x5040100
	ds_write2_b32 v18, v17, v19 offset1:1
	v_perm_b32 v17, v47, v22, s4
	v_perm_b32 v19, v45, v21, s4
	ds_write2_b32 v18, v19, v17 offset0:2 offset1:3
	v_perm_b32 v17, v46, v23, s4
	ds_write_b32 v18, v17 offset:16
.LBB0_17:
	s_or_b64 exec, exec, s[2:3]
	s_waitcnt lgkmcnt(0)
	; wave barrier
	s_waitcnt lgkmcnt(0)
	ds_read2_b32 v[17:18], v28 offset1:50
	ds_read2_b32 v[19:20], v28 offset0:100 offset1:150
	ds_read2_b32 v[24:25], v28 offset0:200 offset1:250
	ds_read_b32 v27, v28 offset:1200
	s_movk_i32 s2, 0x2b26
	s_waitcnt lgkmcnt(3)
	v_lshrrev_b32_e32 v26, 16, v18
	v_mul_f16_sdwa v42, v0, v26 dst_sel:DWORD dst_unused:UNUSED_PAD src0_sel:WORD_1 src1_sel:DWORD
	s_waitcnt lgkmcnt(2)
	v_lshrrev_b32_e32 v35, 16, v19
	v_fma_f16 v42, v0, v18, v42
	v_mul_f16_sdwa v18, v0, v18 dst_sel:DWORD dst_unused:UNUSED_PAD src0_sel:WORD_1 src1_sel:DWORD
	v_fma_f16 v0, v0, v26, -v18
	v_mul_f16_sdwa v18, v1, v35 dst_sel:DWORD dst_unused:UNUSED_PAD src0_sel:WORD_1 src1_sel:DWORD
	v_lshrrev_b32_e32 v36, 16, v20
	v_fma_f16 v18, v1, v19, v18
	v_mul_f16_sdwa v19, v1, v19 dst_sel:DWORD dst_unused:UNUSED_PAD src0_sel:WORD_1 src1_sel:DWORD
	v_fma_f16 v1, v1, v35, -v19
	v_mul_f16_sdwa v19, v2, v36 dst_sel:DWORD dst_unused:UNUSED_PAD src0_sel:WORD_1 src1_sel:DWORD
	s_waitcnt lgkmcnt(1)
	v_lshrrev_b32_e32 v39, 16, v24
	v_fma_f16 v19, v2, v20, v19
	v_mul_f16_sdwa v20, v2, v20 dst_sel:DWORD dst_unused:UNUSED_PAD src0_sel:WORD_1 src1_sel:DWORD
	v_fma_f16 v2, v2, v36, -v20
	v_mul_f16_sdwa v20, v3, v39 dst_sel:DWORD dst_unused:UNUSED_PAD src0_sel:WORD_1 src1_sel:DWORD
	v_lshrrev_b32_e32 v40, 16, v25
	v_fma_f16 v20, v3, v24, v20
	v_mul_f16_sdwa v24, v3, v24 dst_sel:DWORD dst_unused:UNUSED_PAD src0_sel:WORD_1 src1_sel:DWORD
	v_fma_f16 v3, v3, v39, -v24
	v_mul_f16_sdwa v24, v15, v40 dst_sel:DWORD dst_unused:UNUSED_PAD src0_sel:WORD_1 src1_sel:DWORD
	s_waitcnt lgkmcnt(0)
	v_lshrrev_b32_e32 v41, 16, v27
	v_fma_f16 v24, v15, v25, v24
	v_mul_f16_sdwa v25, v15, v25 dst_sel:DWORD dst_unused:UNUSED_PAD src0_sel:WORD_1 src1_sel:DWORD
	v_fma_f16 v15, v15, v40, -v25
	v_mul_f16_sdwa v25, v16, v41 dst_sel:DWORD dst_unused:UNUSED_PAD src0_sel:WORD_1 src1_sel:DWORD
	v_mul_f16_sdwa v26, v16, v27 dst_sel:DWORD dst_unused:UNUSED_PAD src0_sel:WORD_1 src1_sel:DWORD
	v_fma_f16 v25, v16, v27, v25
	v_fma_f16 v16, v16, v41, -v26
	v_add_f16_e32 v26, v42, v25
	v_add_f16_e32 v27, v0, v16
	v_sub_f16_e32 v0, v0, v16
	v_add_f16_e32 v16, v18, v24
	v_add_f16_e32 v35, v1, v15
	v_sub_f16_e32 v18, v18, v24
	v_sub_f16_e32 v1, v1, v15
	v_add_f16_e32 v15, v19, v20
	v_add_f16_e32 v24, v2, v3
	v_sub_f16_e32 v19, v20, v19
	v_sub_f16_e32 v25, v42, v25
	;; [unrolled: 1-line block ×3, first 2 shown]
	v_add_f16_e32 v3, v16, v26
	v_add_f16_e32 v20, v35, v27
	v_sub_f16_e32 v36, v16, v26
	v_sub_f16_e32 v39, v35, v27
	;; [unrolled: 1-line block ×4, first 2 shown]
	v_add_f16_e32 v40, v19, v18
	v_sub_f16_e32 v16, v15, v16
	v_sub_f16_e32 v35, v24, v35
	;; [unrolled: 1-line block ×5, first 2 shown]
	v_add_f16_e32 v3, v15, v3
	v_add_f16_e32 v15, v24, v20
	;; [unrolled: 1-line block ×3, first 2 shown]
	v_mul_f16_e32 v25, 0x3a52, v26
	v_mul_f16_e32 v26, 0x3a52, v27
	;; [unrolled: 1-line block ×4, first 2 shown]
	v_fma_f16 v16, v16, s2, v25
	v_fma_f16 v35, v35, s2, v26
	s_movk_i32 s2, 0x39e0
	v_add_f16_e32 v41, v2, v1
	v_sub_f16_e32 v43, v2, v1
	v_fma_f16 v27, v36, s2, -v27
	v_fma_f16 v40, v39, s2, -v40
	s_mov_b32 s2, 0xb9e0
	v_sub_f16_e32 v2, v0, v2
	v_sub_f16_e32 v1, v1, v0
	v_add_f16_e32 v24, v41, v0
	v_mul_f16_e32 v41, 0x3846, v42
	v_mul_f16_e32 v42, 0x3846, v43
	v_fma_f16 v25, v36, s2, -v25
	v_fma_f16 v26, v39, s2, -v26
	s_mov_b32 s2, 0xb574
	v_add_f16_e32 v0, v17, v3
	v_add_f16_sdwa v17, v17, v15 dst_sel:DWORD dst_unused:UNUSED_PAD src0_sel:WORD_1 src1_sel:DWORD
	v_mul_f16_e32 v43, 0xbb00, v18
	v_mul_f16_e32 v44, 0xbb00, v1
	s_mov_b32 s4, 0xbcab
	v_fma_f16 v36, v19, s2, v41
	v_fma_f16 v39, v2, s2, v42
	s_movk_i32 s2, 0x3574
	s_mov_b32 s3, 0xbb00
	v_fma_f16 v3, v3, s4, v0
	v_fma_f16 v15, v15, s4, v17
	v_fma_f16 v19, v19, s2, -v43
	v_fma_f16 v2, v2, s2, -v44
	s_mov_b32 s2, 0xb70e
	v_fma_f16 v18, v18, s3, -v41
	v_fma_f16 v1, v1, s3, -v42
	v_add_f16_e32 v41, v16, v3
	v_add_f16_e32 v35, v35, v15
	v_fma_f16 v36, v20, s2, v36
	v_fma_f16 v39, v24, s2, v39
	v_add_f16_e32 v16, v27, v3
	v_add_f16_e32 v27, v40, v15
	;; [unrolled: 1-line block ×4, first 2 shown]
	v_fma_f16 v26, v20, s2, v18
	v_fma_f16 v15, v24, s2, v1
	v_fma_f16 v20, v20, s2, v19
	v_fma_f16 v24, v24, s2, v2
	v_add_f16_e32 v1, v39, v41
	v_sub_f16_e32 v18, v35, v36
	v_add_f16_e32 v2, v24, v40
	v_sub_f16_e32 v25, v42, v20
	v_sub_f16_e32 v3, v16, v15
	v_add_f16_e32 v19, v26, v27
	v_sub_f16_e32 v26, v27, v26
	v_add_f16_e32 v27, v36, v35
	v_pack_b32_f16 v35, v0, v17
	v_pack_b32_f16 v36, v1, v18
	v_add_f16_e32 v15, v15, v16
	v_sub_f16_e32 v16, v40, v24
	v_add_f16_e32 v24, v20, v42
	s_waitcnt lgkmcnt(0)
	; wave barrier
	ds_write2_b32 v38, v35, v36 offset1:5
	v_pack_b32_f16 v35, v2, v25
	v_pack_b32_f16 v36, v3, v19
	v_sub_f16_e32 v20, v41, v39
	ds_write2_b32 v38, v35, v36 offset0:10 offset1:15
	v_pack_b32_f16 v35, v15, v26
	v_pack_b32_f16 v36, v16, v24
	ds_write2_b32 v38, v35, v36 offset0:20 offset1:25
	v_pack_b32_f16 v35, v20, v27
	ds_write_b32 v38, v35 offset:120
	s_waitcnt lgkmcnt(0)
	; wave barrier
	s_waitcnt lgkmcnt(0)
	s_and_saveexec_b64 s[2:3], s[0:1]
	s_cbranch_execz .LBB0_19
; %bb.18:
	v_add_u32_e32 v22, 0x400, v28
	ds_read2_b32 v[0:1], v28 offset1:35
	ds_read2_b32 v[2:3], v28 offset0:70 offset1:105
	ds_read2_b32 v[15:16], v28 offset0:140 offset1:175
	;; [unrolled: 1-line block ×4, first 2 shown]
	s_waitcnt lgkmcnt(4)
	v_lshrrev_b32_e32 v17, 16, v0
	v_lshrrev_b32_e32 v18, 16, v1
	s_waitcnt lgkmcnt(3)
	v_lshrrev_b32_e32 v25, 16, v2
	v_lshrrev_b32_e32 v19, 16, v3
	;; [unrolled: 3-line block ×5, first 2 shown]
.LBB0_19:
	s_or_b64 exec, exec, s[2:3]
	s_and_saveexec_b64 s[2:3], s[0:1]
	s_cbranch_execz .LBB0_21
; %bb.20:
	v_mul_f16_sdwa v35, v5, v2 dst_sel:DWORD dst_unused:UNUSED_PAD src0_sel:WORD_1 src1_sel:DWORD
	v_mul_f16_sdwa v36, v7, v15 dst_sel:DWORD dst_unused:UNUSED_PAD src0_sel:WORD_1 src1_sel:DWORD
	;; [unrolled: 1-line block ×4, first 2 shown]
	v_fma_f16 v35, v5, v25, -v35
	v_fma_f16 v36, v7, v26, -v36
	;; [unrolled: 1-line block ×4, first 2 shown]
	v_mul_f16_sdwa v25, v5, v25 dst_sel:DWORD dst_unused:UNUSED_PAD src0_sel:WORD_1 src1_sel:DWORD
	v_sub_f16_e32 v38, v35, v36
	v_sub_f16_e32 v41, v39, v40
	v_fma_f16 v2, v5, v2, v25
	v_mul_f16_sdwa v5, v11, v47 dst_sel:DWORD dst_unused:UNUSED_PAD src0_sel:WORD_1 src1_sel:DWORD
	v_mul_f16_sdwa v25, v7, v26 dst_sel:DWORD dst_unused:UNUSED_PAD src0_sel:WORD_1 src1_sel:DWORD
	v_add_f16_e32 v38, v41, v38
	v_add_f16_e32 v41, v40, v36
	v_fma_f16 v5, v11, v22, v5
	v_fma_f16 v7, v7, v15, v25
	v_mul_f16_sdwa v15, v9, v27 dst_sel:DWORD dst_unused:UNUSED_PAD src0_sel:WORD_1 src1_sel:DWORD
	v_fma_f16 v41, v41, -0.5, v17
	v_sub_f16_e32 v11, v2, v5
	s_mov_b32 s0, 0xbb9c
	v_fma_f16 v9, v9, v20, v15
	v_fma_f16 v22, v11, s0, v41
	v_sub_f16_e32 v15, v7, v9
	s_mov_b32 s1, 0xb8b4
	v_fma_f16 v20, v15, s1, v22
	v_mul_f16_sdwa v22, v6, v19 dst_sel:DWORD dst_unused:UNUSED_PAD src0_sel:WORD_1 src1_sel:DWORD
	v_mul_f16_sdwa v25, v8, v24 dst_sel:DWORD dst_unused:UNUSED_PAD src0_sel:WORD_1 src1_sel:DWORD
	;; [unrolled: 1-line block ×4, first 2 shown]
	v_fma_f16 v22, v6, v3, v22
	v_fma_f16 v25, v8, v16, v25
	v_fma_f16 v27, v37, v23, v27
	v_fma_f16 v42, v10, v21, v42
	v_mul_f16_sdwa v3, v6, v3 dst_sel:DWORD dst_unused:UNUSED_PAD src0_sel:WORD_1 src1_sel:DWORD
	v_mul_f16_sdwa v16, v8, v16 dst_sel:DWORD dst_unused:UNUSED_PAD src0_sel:WORD_1 src1_sel:DWORD
	v_sub_f16_e32 v26, v22, v25
	v_sub_f16_e32 v43, v27, v42
	v_fma_f16 v3, v6, v19, -v3
	v_mul_f16_sdwa v6, v37, v23 dst_sel:DWORD dst_unused:UNUSED_PAD src0_sel:WORD_1 src1_sel:DWORD
	v_fma_f16 v8, v8, v24, -v16
	v_mul_f16_sdwa v16, v10, v21 dst_sel:DWORD dst_unused:UNUSED_PAD src0_sel:WORD_1 src1_sel:DWORD
	v_sub_f16_e32 v47, v36, v35
	v_sub_f16_e32 v48, v40, v39
	v_add_f16_e32 v26, v26, v43
	v_mul_f16_sdwa v43, v4, v18 dst_sel:DWORD dst_unused:UNUSED_PAD src0_sel:WORD_1 src1_sel:DWORD
	v_fma_f16 v6, v37, v46, -v6
	v_fma_f16 v10, v10, v45, -v16
	v_add_f16_e32 v47, v48, v47
	v_add_f16_e32 v48, v39, v35
	v_fma_f16 v43, v4, v1, v43
	s_movk_i32 s5, 0x3b9c
	v_mul_f16_sdwa v1, v4, v1 dst_sel:DWORD dst_unused:UNUSED_PAD src0_sel:WORD_1 src1_sel:DWORD
	v_fma_f16 v48, v48, -0.5, v17
	v_sub_f16_e32 v53, v8, v3
	v_sub_f16_e32 v54, v10, v6
	v_add_f16_e32 v44, v25, v42
	s_movk_i32 s12, 0x38b4
	v_fma_f16 v1, v4, v18, -v1
	v_add_f16_e32 v4, v8, v10
	v_fma_f16 v49, v15, s5, v48
	v_add_f16_e32 v53, v53, v54
	v_add_f16_e32 v54, v3, v6
	v_fma_f16 v48, v15, s0, v48
	v_fma_f16 v44, v44, -0.5, v43
	v_sub_f16_e32 v19, v3, v6
	v_fma_f16 v4, v4, -0.5, v1
	v_fma_f16 v49, v11, s1, v49
	v_sub_f16_e32 v50, v25, v22
	v_sub_f16_e32 v51, v42, v27
	v_fma_f16 v54, v54, -0.5, v1
	v_fma_f16 v48, v11, s12, v48
	v_fma_f16 v11, v11, s5, v41
	v_add_f16_e32 v1, v3, v1
	v_fma_f16 v23, v19, s5, v44
	v_sub_f16_e32 v16, v8, v10
	v_add_f16_e32 v50, v50, v51
	v_add_f16_e32 v51, v22, v27
	v_fma_f16 v11, v15, s12, v11
	v_fma_f16 v15, v19, s0, v44
	v_add_f16_e32 v1, v8, v1
	s_movk_i32 s4, 0x34f2
	v_fma_f16 v21, v16, s12, v23
	v_sub_f16_e32 v23, v3, v8
	v_sub_f16_e32 v24, v6, v10
	;; [unrolled: 1-line block ×3, first 2 shown]
	v_fma_f16 v51, v51, -0.5, v43
	v_fma_f16 v15, v16, s1, v15
	v_add_f16_e32 v1, v10, v1
	v_fma_f16 v21, v26, s4, v21
	v_add_f16_e32 v23, v23, v24
	v_fma_f16 v24, v18, s0, v4
	v_sub_f16_e32 v37, v25, v42
	v_fma_f16 v49, v47, s4, v49
	v_fma_f16 v52, v16, s0, v51
	v_fma_f16 v47, v47, s4, v48
	v_fma_f16 v48, v16, s5, v51
	v_fma_f16 v15, v26, s4, v15
	v_fma_f16 v4, v18, s5, v4
	v_add_f16_e32 v17, v35, v17
	v_add_f16_e32 v1, v6, v1
	v_sub_f16_e32 v6, v2, v7
	v_sub_f16_e32 v8, v5, v9
	;; [unrolled: 1-line block ×5, first 2 shown]
	v_fma_f16 v24, v37, s1, v24
	v_fma_f16 v52, v19, s12, v52
	;; [unrolled: 1-line block ×4, first 2 shown]
	v_add_f16_e32 v6, v8, v6
	v_add_f16_e32 v8, v9, v7
	;; [unrolled: 1-line block ×4, first 2 shown]
	v_fma_f16 v24, v23, s4, v24
	v_fma_f16 v52, v50, s4, v52
	;; [unrolled: 1-line block ×6, first 2 shown]
	v_fma_f16 v8, v8, -0.5, v0
	v_sub_f16_e32 v23, v36, v40
	v_fma_f16 v35, v35, -0.5, v0
	v_add_f16_e32 v0, v2, v0
	v_add_f16_e32 v2, v22, v43
	v_fma_f16 v55, v18, s1, v55
	v_fma_f16 v50, v18, s12, v50
	v_add_f16_e32 v17, v36, v17
	v_fma_f16 v19, v10, s5, v8
	v_fma_f16 v36, v23, s0, v35
	;; [unrolled: 1-line block ×4, first 2 shown]
	v_add_f16_e32 v0, v7, v0
	v_add_f16_e32 v2, v25, v2
	v_fma_f16 v55, v53, s4, v55
	v_fma_f16 v50, v53, s4, v50
	s_movk_i32 s15, 0x3a79
	v_mul_f16_e32 v16, 0x3a79, v4
	v_add_f16_e32 v17, v40, v17
	v_fma_f16 v19, v23, s12, v19
	v_fma_f16 v36, v10, s12, v36
	;; [unrolled: 1-line block ×4, first 2 shown]
	v_mul_f16_e32 v4, 0xb8b4, v4
	v_add_f16_e32 v0, v9, v0
	v_add_f16_e32 v2, v42, v2
	s_mov_b32 s14, 0xb4f2
	v_mul_f16_e32 v56, 0xb4f2, v55
	v_mul_f16_e32 v51, 0x34f2, v50
	v_fma_f16 v11, v38, s4, v11
	v_fma_f16 v16, v15, s12, v16
	v_add_f16_e32 v17, v39, v17
	v_fma_f16 v19, v6, s4, v19
	v_fma_f16 v36, v26, s4, v36
	v_mul_f16_e32 v37, 0xbb9c, v55
	v_fma_f16 v26, v26, s4, v35
	v_mul_f16_e32 v35, 0xbb9c, v50
	v_fma_f16 v6, v6, s4, v8
	v_fma_f16 v4, v15, s15, v4
	v_add_f16_e32 v0, v5, v0
	v_add_f16_e32 v2, v27, v2
	s_mov_b32 s13, 0xba79
	v_mul_f16_e32 v45, 0xba79, v24
	v_fma_f16 v56, v52, s5, v56
	v_fma_f16 v51, v48, s5, v51
	v_sub_f16_e32 v18, v11, v16
	v_sub_f16_e32 v3, v17, v1
	v_mul_f16_e32 v24, 0xb8b4, v24
	v_fma_f16 v37, v52, s14, v37
	v_fma_f16 v35, v48, s4, v35
	v_sub_f16_e32 v8, v6, v4
	v_sub_f16_e32 v5, v0, v2
	v_add_f16_e32 v11, v11, v16
	v_add_f16_e32 v1, v17, v1
	;; [unrolled: 1-line block ×4, first 2 shown]
	v_fma_f16 v20, v38, s4, v20
	v_fma_f16 v45, v21, s12, v45
	;; [unrolled: 1-line block ×3, first 2 shown]
	v_add_f16_e32 v9, v49, v56
	v_add_f16_e32 v10, v47, v51
	v_add_f16_e32 v16, v36, v37
	v_add_f16_e32 v17, v26, v35
	v_pack_b32_f16 v0, v0, v1
	v_pack_b32_f16 v1, v4, v11
	v_add_f16_e32 v7, v20, v45
	v_add_f16_e32 v15, v19, v21
	ds_write2_b32 v28, v0, v1 offset1:35
	v_pack_b32_f16 v0, v17, v10
	v_pack_b32_f16 v1, v16, v9
	v_sub_f16_e32 v53, v47, v51
	v_sub_f16_e32 v39, v26, v35
	ds_write2_b32 v28, v0, v1 offset0:70 offset1:105
	v_pack_b32_f16 v0, v15, v7
	v_pack_b32_f16 v1, v5, v3
	v_sub_f16_e32 v46, v20, v45
	v_sub_f16_e32 v57, v49, v56
	;; [unrolled: 1-line block ×4, first 2 shown]
	ds_write2_b32 v28, v0, v1 offset0:140 offset1:175
	v_pack_b32_f16 v0, v8, v18
	v_pack_b32_f16 v1, v39, v53
	ds_write2_b32 v28, v0, v1 offset0:210 offset1:245
	v_pack_b32_f16 v0, v38, v57
	v_pack_b32_f16 v1, v24, v46
	v_add_u32_e32 v2, 0x400, v28
	ds_write2_b32 v2, v0, v1 offset0:24 offset1:59
.LBB0_21:
	s_or_b64 exec, exec, s[2:3]
	s_waitcnt lgkmcnt(0)
	; wave barrier
	s_waitcnt lgkmcnt(0)
	ds_read2_b32 v[0:1], v28 offset1:70
	s_mov_b32 s12, 0xe434a9b1
	s_mov_b32 s13, 0x3f6767dc
	v_mad_u64_u32 v[4:5], s[0:1], s10, v14, 0
	s_waitcnt lgkmcnt(0)
	v_lshrrev_b32_e32 v7, 16, v0
	v_mul_f16_sdwa v2, v34, v7 dst_sel:DWORD dst_unused:UNUSED_PAD src0_sel:WORD_1 src1_sel:DWORD
	v_fma_f16 v2, v34, v0, v2
	v_cvt_f32_f16_e32 v2, v2
	s_movk_i32 s10, 0x1ff
	v_mad_u64_u32 v[5:6], s[0:1], s11, v14, v[5:6]
	v_cvt_f64_f32_e32 v[2:3], v2
	s_movk_i32 s11, 0xffe
	v_mul_f16_sdwa v0, v34, v0 dst_sel:DWORD dst_unused:UNUSED_PAD src0_sel:WORD_1 src1_sel:DWORD
	v_fma_f16 v0, v34, v7, -v0
	v_mul_f64 v[2:3], v[2:3], s[12:13]
	v_cvt_f32_f16_e32 v0, v0
	s_movk_i32 s14, 0x40f
	s_mov_b32 s15, 0x8000
	v_and_or_b32 v2, v3, s10, v2
	v_cmp_ne_u32_e64 s[0:1], 0, v2
	v_lshrrev_b32_e32 v6, 8, v3
	v_bfe_u32 v8, v3, 20, 11
	v_cndmask_b32_e64 v2, 0, 1, s[0:1]
	v_sub_u32_e32 v9, 0x3f1, v8
	v_and_or_b32 v10, v6, s11, v2
	v_med3_i32 v2, v9, 0, 13
	v_or_b32_e32 v6, 0x1000, v10
	v_lshrrev_b32_e32 v9, v2, v6
	v_lshlrev_b32_e32 v2, v2, v9
	v_cmp_ne_u32_e64 s[0:1], v2, v6
	v_cndmask_b32_e64 v2, 0, 1, s[0:1]
	v_add_u32_e32 v8, 0xfffffc10, v8
	v_or_b32_e32 v2, v9, v2
	v_lshl_or_b32 v6, v8, 12, v10
	v_cmp_gt_i32_e64 s[0:1], 1, v8
	v_cndmask_b32_e64 v2, v6, v2, s[0:1]
	v_and_b32_e32 v6, 7, v2
	v_cmp_lt_i32_e64 s[0:1], 5, v6
	v_cmp_eq_u32_e64 s[2:3], 3, v6
	v_cvt_f64_f32_e32 v[6:7], v0
	v_lshrrev_b32_e32 v2, 2, v2
	s_or_b64 s[0:1], s[2:3], s[0:1]
	v_addc_co_u32_e64 v9, s[0:1], 0, v2, s[0:1]
	v_mul_f64 v[6:7], v[6:7], s[12:13]
	v_mov_b32_e32 v2, 0x7c00
	v_cmp_gt_i32_e64 s[0:1], 31, v8
	v_cndmask_b32_e64 v0, v2, v9, s[0:1]
	v_cmp_ne_u32_e64 s[0:1], 0, v10
	v_cndmask_b32_e64 v9, 0, 1, s[0:1]
	v_lshl_or_b32 v9, v9, 9, v2
	v_cmp_eq_u32_e64 s[0:1], s14, v8
	v_cndmask_b32_e64 v0, v0, v9, s[0:1]
	v_lshrrev_b32_e32 v3, 16, v3
	v_and_or_b32 v3, v3, s15, v0
	v_and_or_b32 v0, v7, s10, v6
	v_cmp_ne_u32_e64 s[0:1], 0, v0
	v_cndmask_b32_e64 v0, 0, 1, s[0:1]
	v_lshrrev_b32_e32 v6, 8, v7
	v_bfe_u32 v8, v7, 20, 11
	v_and_or_b32 v0, v6, s11, v0
	v_sub_u32_e32 v9, 0x3f1, v8
	v_or_b32_e32 v6, 0x1000, v0
	v_med3_i32 v9, v9, 0, 13
	v_lshrrev_b32_e32 v10, v9, v6
	v_lshlrev_b32_e32 v9, v9, v10
	v_cmp_ne_u32_e64 s[0:1], v9, v6
	v_cndmask_b32_e64 v6, 0, 1, s[0:1]
	v_or_b32_e32 v6, v10, v6
	v_add_u32_e32 v10, 0xfffffc10, v8
	v_lshl_or_b32 v8, v10, 12, v0
	v_cmp_gt_i32_e64 s[0:1], 1, v10
	v_cndmask_b32_e64 v6, v8, v6, s[0:1]
	v_and_b32_e32 v8, 7, v6
	v_cmp_lt_i32_e64 s[0:1], 5, v8
	v_cmp_eq_u32_e64 s[2:3], 3, v8
	v_lshrrev_b32_e32 v6, 2, v6
	s_or_b64 s[0:1], s[2:3], s[0:1]
	v_addc_co_u32_e64 v6, s[0:1], 0, v6, s[0:1]
	v_cmp_gt_i32_e64 s[0:1], 31, v10
	v_cndmask_b32_e64 v6, v2, v6, s[0:1]
	v_cmp_ne_u32_e64 s[0:1], 0, v0
	v_cndmask_b32_e64 v0, 0, 1, s[0:1]
	v_mad_u64_u32 v[8:9], s[0:1], s8, v33, 0
	v_lshl_or_b32 v0, v0, 9, v2
	v_cmp_eq_u32_e64 s[0:1], s14, v10
	v_cndmask_b32_e64 v10, v6, v0, s[0:1]
	v_mov_b32_e32 v0, v9
	v_lshrrev_b32_e32 v11, 16, v7
	v_mad_u64_u32 v[6:7], s[0:1], s9, v33, v[0:1]
	v_lshrrev_b32_e32 v0, 16, v1
	v_mul_f16_sdwa v7, v32, v0 dst_sel:DWORD dst_unused:UNUSED_PAD src0_sel:WORD_1 src1_sel:DWORD
	v_fma_f16 v7, v32, v1, v7
	v_cvt_f32_f16_e32 v7, v7
	v_mov_b32_e32 v9, v6
	v_and_or_b32 v10, v11, s15, v10
	v_and_b32_e32 v3, 0xffff, v3
	v_cvt_f64_f32_e32 v[6:7], v7
	v_lshl_or_b32 v10, v10, 16, v3
	v_lshlrev_b64 v[3:4], 2, v[4:5]
	v_mov_b32_e32 v11, s7
	v_mul_f64 v[5:6], v[6:7], s[12:13]
	v_add_co_u32_e64 v7, s[0:1], s6, v3
	v_addc_co_u32_e64 v11, s[0:1], v11, v4, s[0:1]
	v_lshlrev_b64 v[3:4], 2, v[8:9]
	v_mul_f16_sdwa v1, v32, v1 dst_sel:DWORD dst_unused:UNUSED_PAD src0_sel:WORD_1 src1_sel:DWORD
	v_add_co_u32_e64 v3, s[0:1], v7, v3
	v_addc_co_u32_e64 v4, s[0:1], v11, v4, s[0:1]
	v_and_or_b32 v5, v6, s10, v5
	v_cmp_ne_u32_e64 s[0:1], 0, v5
	v_fma_f16 v0, v32, v0, -v1
	v_cndmask_b32_e64 v5, 0, 1, s[0:1]
	v_lshrrev_b32_e32 v7, 8, v6
	v_bfe_u32 v8, v6, 20, 11
	v_cvt_f32_f16_e32 v0, v0
	v_and_or_b32 v5, v7, s11, v5
	v_sub_u32_e32 v9, 0x3f1, v8
	v_or_b32_e32 v7, 0x1000, v5
	v_med3_i32 v9, v9, 0, 13
	global_store_dword v[3:4], v10, off
	v_lshrrev_b32_e32 v10, v9, v7
	v_lshlrev_b32_e32 v9, v9, v10
	v_cvt_f64_f32_e32 v[0:1], v0
	v_cmp_ne_u32_e64 s[0:1], v9, v7
	v_cndmask_b32_e64 v7, 0, 1, s[0:1]
	v_add_u32_e32 v8, 0xfffffc10, v8
	v_or_b32_e32 v7, v10, v7
	v_lshl_or_b32 v9, v8, 12, v5
	v_cmp_gt_i32_e64 s[0:1], 1, v8
	v_cndmask_b32_e64 v7, v9, v7, s[0:1]
	v_mul_f64 v[0:1], v[0:1], s[12:13]
	v_and_b32_e32 v9, 7, v7
	v_cmp_lt_i32_e64 s[0:1], 5, v9
	v_cmp_eq_u32_e64 s[2:3], 3, v9
	v_lshrrev_b32_e32 v7, 2, v7
	s_or_b64 s[0:1], s[2:3], s[0:1]
	v_addc_co_u32_e64 v7, s[0:1], 0, v7, s[0:1]
	v_cmp_gt_i32_e64 s[0:1], 31, v8
	v_cndmask_b32_e64 v7, v2, v7, s[0:1]
	v_cmp_ne_u32_e64 s[0:1], 0, v5
	v_cndmask_b32_e64 v5, 0, 1, s[0:1]
	v_lshl_or_b32 v5, v5, 9, v2
	v_cmp_eq_u32_e64 s[0:1], s14, v8
	v_and_or_b32 v0, v1, s10, v0
	v_cndmask_b32_e64 v5, v7, v5, s[0:1]
	v_lshrrev_b32_e32 v6, 16, v6
	v_cmp_ne_u32_e64 s[0:1], 0, v0
	v_and_or_b32 v7, v6, s15, v5
	v_cndmask_b32_e64 v0, 0, 1, s[0:1]
	v_lshrrev_b32_e32 v5, 8, v1
	v_bfe_u32 v6, v1, 20, 11
	v_and_or_b32 v0, v5, s11, v0
	v_sub_u32_e32 v8, 0x3f1, v6
	v_or_b32_e32 v5, 0x1000, v0
	v_med3_i32 v8, v8, 0, 13
	v_lshrrev_b32_e32 v9, v8, v5
	v_lshlrev_b32_e32 v8, v8, v9
	v_cmp_ne_u32_e64 s[0:1], v8, v5
	v_cndmask_b32_e64 v5, 0, 1, s[0:1]
	v_add_u32_e32 v8, 0xfffffc10, v6
	v_or_b32_e32 v5, v9, v5
	v_lshl_or_b32 v6, v8, 12, v0
	v_cmp_gt_i32_e64 s[0:1], 1, v8
	v_cndmask_b32_e64 v5, v6, v5, s[0:1]
	v_and_b32_e32 v6, 7, v5
	v_cmp_lt_i32_e64 s[0:1], 5, v6
	v_cmp_eq_u32_e64 s[2:3], 3, v6
	v_lshrrev_b32_e32 v5, 2, v5
	s_or_b64 s[0:1], s[2:3], s[0:1]
	v_addc_co_u32_e64 v5, s[0:1], 0, v5, s[0:1]
	v_cmp_gt_i32_e64 s[0:1], 31, v8
	v_cndmask_b32_e64 v9, v2, v5, s[0:1]
	ds_read2_b32 v[5:6], v28 offset0:140 offset1:210
	v_cmp_ne_u32_e64 s[0:1], 0, v0
	v_cndmask_b32_e64 v0, 0, 1, s[0:1]
	v_lshl_or_b32 v0, v0, 9, v2
	v_cmp_eq_u32_e64 s[0:1], s14, v8
	v_cndmask_b32_e64 v0, v9, v0, s[0:1]
	v_lshrrev_b32_e32 v1, 16, v1
	s_waitcnt lgkmcnt(0)
	v_lshrrev_b32_e32 v9, 16, v5
	v_and_or_b32 v8, v1, s15, v0
	v_mul_f16_sdwa v0, v31, v9 dst_sel:DWORD dst_unused:UNUSED_PAD src0_sel:WORD_1 src1_sel:DWORD
	v_fma_f16 v0, v31, v5, v0
	v_cvt_f32_f16_e32 v0, v0
	s_mul_i32 s0, s9, 0x46
	s_mul_hi_u32 s1, s8, 0x46
	s_add_i32 s1, s1, s0
	v_cvt_f64_f32_e32 v[0:1], v0
	s_mul_i32 s0, s8, 0x46
	s_lshl_b64 s[6:7], s[0:1], 2
	v_mov_b32_e32 v10, s7
	v_mul_f64 v[0:1], v[0:1], s[12:13]
	v_add_co_u32_e64 v3, s[0:1], s6, v3
	v_and_b32_e32 v7, 0xffff, v7
	v_addc_co_u32_e64 v4, s[0:1], v4, v10, s[0:1]
	v_lshl_or_b32 v7, v8, 16, v7
	global_store_dword v[3:4], v7, off
	v_and_or_b32 v0, v1, s10, v0
	v_cmp_ne_u32_e64 s[0:1], 0, v0
	v_cndmask_b32_e64 v0, 0, 1, s[0:1]
	v_lshrrev_b32_e32 v7, 8, v1
	v_bfe_u32 v8, v1, 20, 11
	v_and_or_b32 v0, v7, s11, v0
	v_sub_u32_e32 v11, 0x3f1, v8
	v_or_b32_e32 v7, 0x1000, v0
	v_med3_i32 v11, v11, 0, 13
	v_lshrrev_b32_e32 v14, v11, v7
	v_lshlrev_b32_e32 v11, v11, v14
	v_mul_f16_sdwa v5, v31, v5 dst_sel:DWORD dst_unused:UNUSED_PAD src0_sel:WORD_1 src1_sel:DWORD
	v_cmp_ne_u32_e64 s[0:1], v11, v7
	v_fma_f16 v5, v31, v9, -v5
	v_cndmask_b32_e64 v7, 0, 1, s[0:1]
	v_add_u32_e32 v11, 0xfffffc10, v8
	v_cvt_f32_f16_e32 v5, v5
	v_or_b32_e32 v7, v14, v7
	v_lshl_or_b32 v8, v11, 12, v0
	v_cmp_gt_i32_e64 s[0:1], 1, v11
	v_cndmask_b32_e64 v7, v8, v7, s[0:1]
	v_and_b32_e32 v8, 7, v7
	v_cmp_lt_i32_e64 s[0:1], 5, v8
	v_cmp_eq_u32_e64 s[2:3], 3, v8
	v_lshrrev_b32_e32 v9, 2, v7
	v_cvt_f64_f32_e32 v[7:8], v5
	s_or_b64 s[0:1], s[2:3], s[0:1]
	v_addc_co_u32_e64 v5, s[0:1], 0, v9, s[0:1]
	v_mul_f64 v[7:8], v[7:8], s[12:13]
	v_cmp_gt_i32_e64 s[0:1], 31, v11
	v_cndmask_b32_e64 v5, v2, v5, s[0:1]
	v_cmp_ne_u32_e64 s[0:1], 0, v0
	v_cndmask_b32_e64 v0, 0, 1, s[0:1]
	v_lshl_or_b32 v0, v0, 9, v2
	v_cmp_eq_u32_e64 s[0:1], s14, v11
	v_cndmask_b32_e64 v0, v5, v0, s[0:1]
	v_lshrrev_b32_e32 v1, 16, v1
	v_and_or_b32 v5, v1, s15, v0
	v_and_or_b32 v0, v8, s10, v7
	v_cmp_ne_u32_e64 s[0:1], 0, v0
	v_cndmask_b32_e64 v0, 0, 1, s[0:1]
	v_lshrrev_b32_e32 v1, 8, v8
	v_bfe_u32 v7, v8, 20, 11
	v_and_or_b32 v0, v1, s11, v0
	v_sub_u32_e32 v9, 0x3f1, v7
	v_or_b32_e32 v1, 0x1000, v0
	v_med3_i32 v9, v9, 0, 13
	v_lshrrev_b32_e32 v11, v9, v1
	v_lshlrev_b32_e32 v9, v9, v11
	v_cmp_ne_u32_e64 s[0:1], v9, v1
	v_cndmask_b32_e64 v1, 0, 1, s[0:1]
	v_add_u32_e32 v7, 0xfffffc10, v7
	v_or_b32_e32 v1, v11, v1
	v_lshl_or_b32 v9, v7, 12, v0
	v_cmp_gt_i32_e64 s[0:1], 1, v7
	v_cndmask_b32_e64 v1, v9, v1, s[0:1]
	v_and_b32_e32 v9, 7, v1
	v_cmp_lt_i32_e64 s[0:1], 5, v9
	v_cmp_eq_u32_e64 s[2:3], 3, v9
	v_lshrrev_b32_e32 v1, 2, v1
	s_or_b64 s[0:1], s[2:3], s[0:1]
	v_addc_co_u32_e64 v1, s[0:1], 0, v1, s[0:1]
	v_cmp_gt_i32_e64 s[0:1], 31, v7
	v_lshrrev_b32_e32 v11, 16, v6
	v_cndmask_b32_e64 v9, v2, v1, s[0:1]
	v_mul_f16_sdwa v1, v30, v11 dst_sel:DWORD dst_unused:UNUSED_PAD src0_sel:WORD_1 src1_sel:DWORD
	v_fma_f16 v1, v30, v6, v1
	v_cvt_f32_f16_e32 v1, v1
	v_cmp_ne_u32_e64 s[0:1], 0, v0
	v_cndmask_b32_e64 v0, 0, 1, s[0:1]
	v_lshl_or_b32 v14, v0, 9, v2
	v_cvt_f64_f32_e32 v[0:1], v1
	v_cmp_eq_u32_e64 s[0:1], s14, v7
	v_cndmask_b32_e64 v7, v9, v14, s[0:1]
	v_lshrrev_b32_e32 v8, 16, v8
	v_mul_f64 v[0:1], v[0:1], s[12:13]
	v_add_co_u32_e64 v3, s[0:1], s6, v3
	v_and_or_b32 v7, v8, s15, v7
	v_and_b32_e32 v5, 0xffff, v5
	v_addc_co_u32_e64 v4, s[0:1], v4, v10, s[0:1]
	v_lshl_or_b32 v5, v7, 16, v5
	v_and_or_b32 v0, v1, s10, v0
	v_cmp_ne_u32_e64 s[0:1], 0, v0
	global_store_dword v[3:4], v5, off
	v_cndmask_b32_e64 v0, 0, 1, s[0:1]
	v_lshrrev_b32_e32 v5, 8, v1
	v_bfe_u32 v7, v1, 20, 11
	v_and_or_b32 v0, v5, s11, v0
	v_sub_u32_e32 v8, 0x3f1, v7
	v_or_b32_e32 v5, 0x1000, v0
	v_med3_i32 v8, v8, 0, 13
	v_lshrrev_b32_e32 v9, v8, v5
	v_lshlrev_b32_e32 v8, v8, v9
	v_mul_f16_sdwa v6, v30, v6 dst_sel:DWORD dst_unused:UNUSED_PAD src0_sel:WORD_1 src1_sel:DWORD
	v_cmp_ne_u32_e64 s[0:1], v8, v5
	v_fma_f16 v6, v30, v11, -v6
	v_cndmask_b32_e64 v5, 0, 1, s[0:1]
	v_add_u32_e32 v7, 0xfffffc10, v7
	v_cvt_f32_f16_e32 v6, v6
	v_or_b32_e32 v5, v9, v5
	v_lshl_or_b32 v8, v7, 12, v0
	v_cmp_gt_i32_e64 s[0:1], 1, v7
	v_cndmask_b32_e64 v5, v8, v5, s[0:1]
	v_and_b32_e32 v8, 7, v5
	v_cmp_lt_i32_e64 s[0:1], 5, v8
	v_cmp_eq_u32_e64 s[2:3], 3, v8
	v_lshrrev_b32_e32 v8, 2, v5
	v_cvt_f64_f32_e32 v[5:6], v6
	s_or_b64 s[0:1], s[2:3], s[0:1]
	v_addc_co_u32_e64 v8, s[0:1], 0, v8, s[0:1]
	v_mul_f64 v[5:6], v[5:6], s[12:13]
	v_cmp_gt_i32_e64 s[0:1], 31, v7
	v_cndmask_b32_e64 v8, v2, v8, s[0:1]
	v_cmp_ne_u32_e64 s[0:1], 0, v0
	v_cndmask_b32_e64 v0, 0, 1, s[0:1]
	v_lshl_or_b32 v0, v0, 9, v2
	v_cmp_eq_u32_e64 s[0:1], s14, v7
	v_cndmask_b32_e64 v0, v8, v0, s[0:1]
	v_lshrrev_b32_e32 v1, 16, v1
	v_and_or_b32 v7, v1, s15, v0
	v_and_or_b32 v0, v6, s10, v5
	v_cmp_ne_u32_e64 s[0:1], 0, v0
	v_cndmask_b32_e64 v0, 0, 1, s[0:1]
	v_lshrrev_b32_e32 v1, 8, v6
	v_bfe_u32 v5, v6, 20, 11
	v_and_or_b32 v0, v1, s11, v0
	v_sub_u32_e32 v8, 0x3f1, v5
	v_or_b32_e32 v1, 0x1000, v0
	v_med3_i32 v8, v8, 0, 13
	v_lshrrev_b32_e32 v9, v8, v1
	v_lshlrev_b32_e32 v8, v8, v9
	v_cmp_ne_u32_e64 s[0:1], v8, v1
	v_cndmask_b32_e64 v1, 0, 1, s[0:1]
	v_add_u32_e32 v5, 0xfffffc10, v5
	v_or_b32_e32 v1, v9, v1
	v_lshl_or_b32 v8, v5, 12, v0
	v_cmp_gt_i32_e64 s[0:1], 1, v5
	v_cndmask_b32_e64 v1, v8, v1, s[0:1]
	v_and_b32_e32 v8, 7, v1
	v_cmp_lt_i32_e64 s[0:1], 5, v8
	v_cmp_eq_u32_e64 s[2:3], 3, v8
	ds_read_b32 v8, v28 offset:1120
	v_lshrrev_b32_e32 v1, 2, v1
	s_or_b64 s[0:1], s[2:3], s[0:1]
	v_addc_co_u32_e64 v1, s[0:1], 0, v1, s[0:1]
	v_cmp_gt_i32_e64 s[0:1], 31, v5
	s_waitcnt lgkmcnt(0)
	v_lshrrev_b32_e32 v11, 16, v8
	v_cndmask_b32_e64 v9, v2, v1, s[0:1]
	v_mul_f16_sdwa v1, v29, v11 dst_sel:DWORD dst_unused:UNUSED_PAD src0_sel:WORD_1 src1_sel:DWORD
	v_fma_f16 v1, v29, v8, v1
	v_cvt_f32_f16_e32 v1, v1
	v_cmp_ne_u32_e64 s[0:1], 0, v0
	v_cndmask_b32_e64 v0, 0, 1, s[0:1]
	v_lshl_or_b32 v14, v0, 9, v2
	v_cvt_f64_f32_e32 v[0:1], v1
	v_cmp_eq_u32_e64 s[0:1], s14, v5
	v_cndmask_b32_e64 v5, v9, v14, s[0:1]
	v_lshrrev_b32_e32 v6, 16, v6
	v_mul_f64 v[0:1], v[0:1], s[12:13]
	v_add_co_u32_e64 v3, s[0:1], s6, v3
	v_and_or_b32 v5, v6, s15, v5
	v_and_b32_e32 v6, 0xffff, v7
	v_addc_co_u32_e64 v4, s[0:1], v4, v10, s[0:1]
	v_lshl_or_b32 v5, v5, 16, v6
	v_and_or_b32 v0, v1, s10, v0
	v_cmp_ne_u32_e64 s[0:1], 0, v0
	global_store_dword v[3:4], v5, off
	v_cndmask_b32_e64 v0, 0, 1, s[0:1]
	v_lshrrev_b32_e32 v5, 8, v1
	v_bfe_u32 v6, v1, 20, 11
	v_and_or_b32 v0, v5, s11, v0
	v_sub_u32_e32 v7, 0x3f1, v6
	v_or_b32_e32 v5, 0x1000, v0
	v_med3_i32 v7, v7, 0, 13
	v_lshrrev_b32_e32 v9, v7, v5
	v_lshlrev_b32_e32 v7, v7, v9
	v_mul_f16_sdwa v8, v29, v8 dst_sel:DWORD dst_unused:UNUSED_PAD src0_sel:WORD_1 src1_sel:DWORD
	v_cmp_ne_u32_e64 s[0:1], v7, v5
	v_fma_f16 v8, v29, v11, -v8
	v_cndmask_b32_e64 v5, 0, 1, s[0:1]
	v_add_u32_e32 v7, 0xfffffc10, v6
	v_cvt_f32_f16_e32 v8, v8
	v_or_b32_e32 v5, v9, v5
	v_lshl_or_b32 v6, v7, 12, v0
	v_cmp_gt_i32_e64 s[0:1], 1, v7
	v_cndmask_b32_e64 v5, v6, v5, s[0:1]
	v_and_b32_e32 v6, 7, v5
	v_cmp_lt_i32_e64 s[0:1], 5, v6
	v_cmp_eq_u32_e64 s[2:3], 3, v6
	v_lshrrev_b32_e32 v9, 2, v5
	v_cvt_f64_f32_e32 v[5:6], v8
	s_or_b64 s[0:1], s[2:3], s[0:1]
	v_addc_co_u32_e64 v8, s[0:1], 0, v9, s[0:1]
	v_mul_f64 v[5:6], v[5:6], s[12:13]
	v_cmp_gt_i32_e64 s[0:1], 31, v7
	v_cndmask_b32_e64 v8, v2, v8, s[0:1]
	v_cmp_ne_u32_e64 s[0:1], 0, v0
	v_cndmask_b32_e64 v0, 0, 1, s[0:1]
	v_lshl_or_b32 v0, v0, 9, v2
	v_cmp_eq_u32_e64 s[0:1], s14, v7
	v_cndmask_b32_e64 v0, v8, v0, s[0:1]
	v_lshrrev_b32_e32 v1, 16, v1
	v_and_or_b32 v0, v1, s15, v0
	v_and_or_b32 v1, v6, s10, v5
	v_cmp_ne_u32_e64 s[0:1], 0, v1
	v_cndmask_b32_e64 v1, 0, 1, s[0:1]
	v_lshrrev_b32_e32 v5, 8, v6
	v_bfe_u32 v7, v6, 20, 11
	v_and_or_b32 v1, v5, s11, v1
	v_sub_u32_e32 v8, 0x3f1, v7
	v_or_b32_e32 v5, 0x1000, v1
	v_med3_i32 v8, v8, 0, 13
	v_lshrrev_b32_e32 v9, v8, v5
	v_lshlrev_b32_e32 v8, v8, v9
	v_cmp_ne_u32_e64 s[0:1], v8, v5
	v_cndmask_b32_e64 v5, 0, 1, s[0:1]
	v_add_u32_e32 v7, 0xfffffc10, v7
	v_or_b32_e32 v5, v9, v5
	v_lshl_or_b32 v8, v7, 12, v1
	v_cmp_gt_i32_e64 s[0:1], 1, v7
	v_cndmask_b32_e64 v5, v8, v5, s[0:1]
	v_and_b32_e32 v8, 7, v5
	v_cmp_lt_i32_e64 s[0:1], 5, v8
	v_cmp_eq_u32_e64 s[2:3], 3, v8
	v_lshrrev_b32_e32 v5, 2, v5
	s_or_b64 s[0:1], s[2:3], s[0:1]
	v_addc_co_u32_e64 v5, s[0:1], 0, v5, s[0:1]
	v_cmp_gt_i32_e64 s[0:1], 31, v7
	v_cndmask_b32_e64 v5, v2, v5, s[0:1]
	v_cmp_ne_u32_e64 s[0:1], 0, v1
	v_cndmask_b32_e64 v1, 0, 1, s[0:1]
	v_lshl_or_b32 v1, v1, 9, v2
	v_cmp_eq_u32_e64 s[0:1], s14, v7
	v_cndmask_b32_e64 v1, v5, v1, s[0:1]
	v_lshrrev_b32_e32 v5, 16, v6
	v_and_or_b32 v1, v5, s15, v1
	v_and_b32_e32 v0, 0xffff, v0
	v_lshl_or_b32 v5, v1, 16, v0
	v_add_co_u32_e64 v0, s[0:1], s6, v3
	v_addc_co_u32_e64 v1, s[0:1], v4, v10, s[0:1]
	global_store_dword v[0:1], v5, off
	s_and_b64 exec, exec, vcc
	s_cbranch_execz .LBB0_23
; %bb.22:
	global_load_dword v5, v[12:13], off offset:200
	global_load_dword v11, v[12:13], off offset:480
	ds_read2_b32 v[3:4], v28 offset0:50 offset1:120
	global_load_dword v14, v[12:13], off offset:760
	global_load_dword v15, v[12:13], off offset:1040
	global_load_dword v16, v[12:13], off offset:1320
	v_mov_b32_e32 v9, 0xfffffc68
	v_mad_u64_u32 v[0:1], s[2:3], s8, v9, v[0:1]
	s_waitcnt lgkmcnt(0)
	v_lshrrev_b32_e32 v6, 16, v3
	v_lshrrev_b32_e32 v12, 16, v4
	s_mul_i32 s0, s9, 0xfffffc68
	s_sub_i32 s0, s0, s8
	v_add_u32_e32 v1, s0, v1
	s_waitcnt vmcnt(4)
	v_mul_f16_sdwa v7, v6, v5 dst_sel:DWORD dst_unused:UNUSED_PAD src0_sel:DWORD src1_sel:WORD_1
	v_mul_f16_sdwa v8, v3, v5 dst_sel:DWORD dst_unused:UNUSED_PAD src0_sel:DWORD src1_sel:WORD_1
	v_fma_f16 v3, v3, v5, v7
	v_cvt_f32_f16_e32 v3, v3
	s_waitcnt vmcnt(3)
	v_mul_f16_sdwa v7, v12, v11 dst_sel:DWORD dst_unused:UNUSED_PAD src0_sel:DWORD src1_sel:WORD_1
	v_fma_f16 v5, v5, v6, -v8
	v_cvt_f32_f16_e32 v8, v5
	v_cvt_f64_f32_e32 v[5:6], v3
	v_fma_f16 v3, v4, v11, v7
	v_cvt_f32_f16_e32 v3, v3
	v_cvt_f64_f32_e32 v[7:8], v8
	v_mul_f64 v[5:6], v[5:6], s[12:13]
	v_mul_f16_sdwa v4, v4, v11 dst_sel:DWORD dst_unused:UNUSED_PAD src0_sel:DWORD src1_sel:WORD_1
	v_cvt_f64_f32_e32 v[9:10], v3
	v_mul_f64 v[7:8], v[7:8], s[12:13]
	v_fma_f16 v4, v11, v12, -v4
	v_cvt_f32_f16_e32 v4, v4
	v_mul_f64 v[9:10], v[9:10], s[12:13]
	v_and_or_b32 v3, v6, s10, v5
	v_cmp_ne_u32_e32 vcc, 0, v3
	v_lshrrev_b32_e32 v5, 8, v6
	v_and_or_b32 v7, v8, s10, v7
	v_bfe_u32 v13, v6, 20, 11
	v_cndmask_b32_e64 v3, 0, 1, vcc
	v_and_or_b32 v9, v10, s10, v9
	v_cmp_ne_u32_e32 vcc, 0, v7
	v_lshrrev_b32_e32 v17, 8, v8
	v_bfe_u32 v18, v8, 20, 11
	v_bfe_u32 v20, v10, 20, 11
	v_sub_u32_e32 v21, 0x3f1, v13
	v_cndmask_b32_e64 v7, 0, 1, vcc
	v_cmp_ne_u32_e32 vcc, 0, v9
	v_and_or_b32 v3, v5, s11, v3
	v_lshrrev_b32_e32 v19, 8, v10
	v_sub_u32_e32 v22, 0x3f1, v18
	v_cndmask_b32_e64 v9, 0, 1, vcc
	v_sub_u32_e32 v23, 0x3f1, v20
	v_med3_i32 v5, v21, 0, 13
	v_and_or_b32 v7, v17, s11, v7
	v_or_b32_e32 v21, 0x1000, v3
	v_add_u32_e32 v13, 0xfffffc10, v13
	v_med3_i32 v17, v22, 0, 13
	v_and_or_b32 v9, v19, s11, v9
	v_med3_i32 v19, v23, 0, 13
	v_cmp_ne_u32_e32 vcc, 0, v3
	v_or_b32_e32 v23, 0x1000, v7
	v_lshrrev_b32_e32 v27, v5, v21
	v_add_u32_e32 v18, 0xfffffc10, v18
	v_lshl_or_b32 v22, v13, 12, v3
	v_cndmask_b32_e64 v3, 0, 1, vcc
	v_cmp_ne_u32_e32 vcc, 0, v7
	v_or_b32_e32 v25, 0x1000, v9
	v_lshrrev_b32_e32 v29, v17, v23
	v_lshlrev_b32_e32 v5, v5, v27
	v_lshl_or_b32 v24, v18, 12, v7
	v_cndmask_b32_e64 v7, 0, 1, vcc
	v_lshrrev_b32_e32 v30, v19, v25
	v_lshlrev_b32_e32 v17, v17, v29
	v_cmp_ne_u32_e32 vcc, v5, v21
	v_lshlrev_b32_e32 v19, v19, v30
	v_cndmask_b32_e64 v5, 0, 1, vcc
	v_cmp_ne_u32_e32 vcc, v17, v23
	v_cndmask_b32_e64 v17, 0, 1, vcc
	v_cmp_ne_u32_e32 vcc, v19, v25
	v_cndmask_b32_e64 v19, 0, 1, vcc
	v_or_b32_e32 v5, v27, v5
	v_cmp_gt_i32_e32 vcc, 1, v13
	v_cndmask_b32_e32 v5, v22, v5, vcc
	v_or_b32_e32 v17, v29, v17
	v_cmp_gt_i32_e32 vcc, 1, v18
	v_and_b32_e32 v21, 7, v5
	v_cndmask_b32_e32 v17, v24, v17, vcc
	v_cmp_lt_i32_e32 vcc, 5, v21
	v_cmp_eq_u32_e64 s[0:1], 3, v21
	v_lshrrev_b32_e32 v5, 2, v5
	v_and_b32_e32 v22, 7, v17
	s_or_b64 vcc, s[0:1], vcc
	v_cmp_lt_i32_e64 s[2:3], 5, v22
	v_cmp_eq_u32_e64 s[4:5], 3, v22
	v_addc_co_u32_e32 v5, vcc, 0, v5, vcc
	v_lshrrev_b32_e32 v17, 2, v17
	s_or_b64 vcc, s[4:5], s[2:3]
	v_addc_co_u32_e32 v17, vcc, 0, v17, vcc
	v_cmp_gt_i32_e32 vcc, 31, v13
	v_cndmask_b32_e32 v5, v2, v5, vcc
	v_cmp_gt_i32_e32 vcc, 31, v18
	v_lshl_or_b32 v3, v3, 9, v2
	v_cndmask_b32_e32 v17, v2, v17, vcc
	v_cmp_eq_u32_e32 vcc, s14, v13
	v_lshrrev_b32_e32 v6, 16, v6
	v_lshl_or_b32 v7, v7, 9, v2
	v_cndmask_b32_e32 v3, v5, v3, vcc
	v_cmp_eq_u32_e32 vcc, s14, v18
	v_lshrrev_b32_e32 v8, 16, v8
	v_cndmask_b32_e32 v5, v17, v7, vcc
	v_and_or_b32 v3, v6, s15, v3
	v_add_u32_e32 v20, 0xfffffc10, v20
	v_and_or_b32 v5, v8, s15, v5
	v_and_b32_e32 v3, 0xffff, v3
	v_lshl_or_b32 v26, v20, 12, v9
	v_or_b32_e32 v19, v30, v19
	v_lshl_or_b32 v3, v5, 16, v3
	v_cmp_gt_i32_e32 vcc, 1, v20
	global_store_dword v[0:1], v3, off
	v_cndmask_b32_e32 v3, v26, v19, vcc
	v_and_b32_e32 v5, 7, v3
	v_cmp_lt_i32_e32 vcc, 5, v5
	v_cmp_eq_u32_e64 s[0:1], 3, v5
	v_lshrrev_b32_e32 v5, 2, v3
	v_cvt_f64_f32_e32 v[3:4], v4
	s_or_b64 vcc, s[0:1], vcc
	v_addc_co_u32_e32 v5, vcc, 0, v5, vcc
	v_mul_f64 v[3:4], v[3:4], s[12:13]
	v_cmp_gt_i32_e32 vcc, 31, v20
	v_cndmask_b32_e32 v5, v2, v5, vcc
	v_cmp_ne_u32_e32 vcc, 0, v9
	v_cndmask_b32_e64 v6, 0, 1, vcc
	v_lshl_or_b32 v6, v6, 9, v2
	v_cmp_eq_u32_e32 vcc, s14, v20
	v_cndmask_b32_e32 v5, v5, v6, vcc
	v_and_or_b32 v3, v4, s10, v3
	v_lshrrev_b32_e32 v6, 16, v10
	v_cmp_ne_u32_e32 vcc, 0, v3
	v_and_or_b32 v9, v6, s15, v5
	v_cndmask_b32_e64 v3, 0, 1, vcc
	v_lshrrev_b32_e32 v5, 8, v4
	v_bfe_u32 v6, v4, 20, 11
	v_and_or_b32 v3, v5, s11, v3
	v_sub_u32_e32 v7, 0x3f1, v6
	v_or_b32_e32 v5, 0x1000, v3
	v_med3_i32 v7, v7, 0, 13
	v_lshrrev_b32_e32 v8, v7, v5
	v_lshlrev_b32_e32 v7, v7, v8
	v_cmp_ne_u32_e32 vcc, v7, v5
	v_cndmask_b32_e64 v5, 0, 1, vcc
	v_add_u32_e32 v7, 0xfffffc10, v6
	v_or_b32_e32 v5, v8, v5
	v_lshl_or_b32 v6, v7, 12, v3
	v_cmp_gt_i32_e32 vcc, 1, v7
	v_cndmask_b32_e32 v5, v6, v5, vcc
	v_and_b32_e32 v6, 7, v5
	v_cmp_lt_i32_e32 vcc, 5, v6
	v_cmp_eq_u32_e64 s[0:1], 3, v6
	v_lshrrev_b32_e32 v5, 2, v5
	s_or_b64 vcc, s[0:1], vcc
	v_addc_co_u32_e32 v8, vcc, 0, v5, vcc
	v_add_u32_e32 v5, 0x200, v28
	ds_read2_b32 v[5:6], v5 offset0:62 offset1:132
	v_cmp_gt_i32_e32 vcc, 31, v7
	v_cndmask_b32_e32 v8, v2, v8, vcc
	v_cmp_ne_u32_e32 vcc, 0, v3
	v_cndmask_b32_e64 v3, 0, 1, vcc
	s_waitcnt lgkmcnt(0)
	v_lshrrev_b32_e32 v10, 16, v5
	s_waitcnt vmcnt(3)
	v_mul_f16_sdwa v11, v10, v14 dst_sel:DWORD dst_unused:UNUSED_PAD src0_sel:DWORD src1_sel:WORD_1
	v_fma_f16 v11, v5, v14, v11
	v_cvt_f32_f16_e32 v11, v11
	v_lshl_or_b32 v3, v3, 9, v2
	v_cmp_eq_u32_e32 vcc, s14, v7
	v_cndmask_b32_e32 v3, v8, v3, vcc
	v_cvt_f64_f32_e32 v[7:8], v11
	v_lshrrev_b32_e32 v4, 16, v4
	v_and_or_b32 v11, v4, s15, v3
	v_and_b32_e32 v9, 0xffff, v9
	v_mul_f64 v[3:4], v[7:8], s[12:13]
	v_lshl_or_b32 v7, v11, 16, v9
	v_mov_b32_e32 v9, s7
	v_add_co_u32_e32 v0, vcc, s6, v0
	v_addc_co_u32_e32 v1, vcc, v1, v9, vcc
	global_store_dword v[0:1], v7, off
	v_and_or_b32 v3, v4, s10, v3
	v_cmp_ne_u32_e32 vcc, 0, v3
	v_cndmask_b32_e64 v3, 0, 1, vcc
	v_lshrrev_b32_e32 v7, 8, v4
	v_bfe_u32 v8, v4, 20, 11
	v_and_or_b32 v3, v7, s11, v3
	v_sub_u32_e32 v11, 0x3f1, v8
	v_or_b32_e32 v7, 0x1000, v3
	v_med3_i32 v11, v11, 0, 13
	v_lshrrev_b32_e32 v12, v11, v7
	v_lshlrev_b32_e32 v11, v11, v12
	v_mul_f16_sdwa v5, v5, v14 dst_sel:DWORD dst_unused:UNUSED_PAD src0_sel:DWORD src1_sel:WORD_1
	v_cmp_ne_u32_e32 vcc, v11, v7
	v_fma_f16 v5, v14, v10, -v5
	v_cndmask_b32_e64 v7, 0, 1, vcc
	v_add_u32_e32 v11, 0xfffffc10, v8
	v_cvt_f32_f16_e32 v5, v5
	v_or_b32_e32 v7, v12, v7
	v_lshl_or_b32 v8, v11, 12, v3
	v_cmp_gt_i32_e32 vcc, 1, v11
	v_cndmask_b32_e32 v7, v8, v7, vcc
	v_and_b32_e32 v8, 7, v7
	v_cmp_lt_i32_e32 vcc, 5, v8
	v_cmp_eq_u32_e64 s[0:1], 3, v8
	v_lshrrev_b32_e32 v10, 2, v7
	v_cvt_f64_f32_e32 v[7:8], v5
	s_or_b64 vcc, s[0:1], vcc
	v_addc_co_u32_e32 v5, vcc, 0, v10, vcc
	v_mul_f64 v[7:8], v[7:8], s[12:13]
	v_cmp_gt_i32_e32 vcc, 31, v11
	v_cndmask_b32_e32 v5, v2, v5, vcc
	v_cmp_ne_u32_e32 vcc, 0, v3
	v_cndmask_b32_e64 v3, 0, 1, vcc
	v_lshl_or_b32 v3, v3, 9, v2
	v_cmp_eq_u32_e32 vcc, s14, v11
	v_cndmask_b32_e32 v3, v5, v3, vcc
	v_lshrrev_b32_e32 v4, 16, v4
	v_and_or_b32 v5, v4, s15, v3
	v_and_or_b32 v3, v8, s10, v7
	v_cmp_ne_u32_e32 vcc, 0, v3
	v_cndmask_b32_e64 v3, 0, 1, vcc
	v_lshrrev_b32_e32 v4, 8, v8
	v_bfe_u32 v7, v8, 20, 11
	v_and_or_b32 v3, v4, s11, v3
	v_sub_u32_e32 v10, 0x3f1, v7
	v_or_b32_e32 v4, 0x1000, v3
	v_med3_i32 v10, v10, 0, 13
	v_lshrrev_b32_e32 v11, v10, v4
	v_lshlrev_b32_e32 v10, v10, v11
	v_cmp_ne_u32_e32 vcc, v10, v4
	v_cndmask_b32_e64 v4, 0, 1, vcc
	v_add_u32_e32 v7, 0xfffffc10, v7
	v_or_b32_e32 v4, v11, v4
	v_lshl_or_b32 v10, v7, 12, v3
	v_cmp_gt_i32_e32 vcc, 1, v7
	v_cndmask_b32_e32 v4, v10, v4, vcc
	v_and_b32_e32 v10, 7, v4
	v_cmp_lt_i32_e32 vcc, 5, v10
	v_cmp_eq_u32_e64 s[0:1], 3, v10
	v_lshrrev_b32_e32 v4, 2, v4
	s_or_b64 vcc, s[0:1], vcc
	v_addc_co_u32_e32 v4, vcc, 0, v4, vcc
	v_cmp_gt_i32_e32 vcc, 31, v7
	v_lshrrev_b32_e32 v11, 16, v6
	v_cndmask_b32_e32 v10, v2, v4, vcc
	s_waitcnt vmcnt(3)
	v_mul_f16_sdwa v4, v11, v15 dst_sel:DWORD dst_unused:UNUSED_PAD src0_sel:DWORD src1_sel:WORD_1
	v_fma_f16 v4, v6, v15, v4
	v_cvt_f32_f16_e32 v4, v4
	v_cmp_ne_u32_e32 vcc, 0, v3
	v_cndmask_b32_e64 v3, 0, 1, vcc
	v_lshl_or_b32 v12, v3, 9, v2
	v_cvt_f64_f32_e32 v[3:4], v4
	v_cmp_eq_u32_e32 vcc, s14, v7
	v_cndmask_b32_e32 v7, v10, v12, vcc
	v_lshrrev_b32_e32 v8, 16, v8
	v_mul_f64 v[3:4], v[3:4], s[12:13]
	v_add_co_u32_e32 v0, vcc, s6, v0
	v_and_or_b32 v7, v8, s15, v7
	v_and_b32_e32 v5, 0xffff, v5
	v_addc_co_u32_e32 v1, vcc, v1, v9, vcc
	v_lshl_or_b32 v5, v7, 16, v5
	v_and_or_b32 v3, v4, s10, v3
	v_cmp_ne_u32_e32 vcc, 0, v3
	global_store_dword v[0:1], v5, off
	v_cndmask_b32_e64 v3, 0, 1, vcc
	v_lshrrev_b32_e32 v5, 8, v4
	v_bfe_u32 v7, v4, 20, 11
	v_and_or_b32 v3, v5, s11, v3
	v_sub_u32_e32 v8, 0x3f1, v7
	v_or_b32_e32 v5, 0x1000, v3
	v_med3_i32 v8, v8, 0, 13
	v_lshrrev_b32_e32 v10, v8, v5
	v_lshlrev_b32_e32 v8, v8, v10
	v_mul_f16_sdwa v6, v6, v15 dst_sel:DWORD dst_unused:UNUSED_PAD src0_sel:DWORD src1_sel:WORD_1
	v_cmp_ne_u32_e32 vcc, v8, v5
	v_fma_f16 v6, v15, v11, -v6
	v_cndmask_b32_e64 v5, 0, 1, vcc
	v_add_u32_e32 v7, 0xfffffc10, v7
	v_cvt_f32_f16_e32 v6, v6
	v_or_b32_e32 v5, v10, v5
	v_lshl_or_b32 v8, v7, 12, v3
	v_cmp_gt_i32_e32 vcc, 1, v7
	v_cndmask_b32_e32 v5, v8, v5, vcc
	v_and_b32_e32 v8, 7, v5
	v_cmp_lt_i32_e32 vcc, 5, v8
	v_cmp_eq_u32_e64 s[0:1], 3, v8
	v_lshrrev_b32_e32 v8, 2, v5
	v_cvt_f64_f32_e32 v[5:6], v6
	s_or_b64 vcc, s[0:1], vcc
	v_addc_co_u32_e32 v8, vcc, 0, v8, vcc
	v_mul_f64 v[5:6], v[5:6], s[12:13]
	v_cmp_gt_i32_e32 vcc, 31, v7
	v_cndmask_b32_e32 v8, v2, v8, vcc
	v_cmp_ne_u32_e32 vcc, 0, v3
	v_cndmask_b32_e64 v3, 0, 1, vcc
	v_lshl_or_b32 v3, v3, 9, v2
	v_cmp_eq_u32_e32 vcc, s14, v7
	v_cndmask_b32_e32 v3, v8, v3, vcc
	v_lshrrev_b32_e32 v4, 16, v4
	v_and_or_b32 v7, v4, s15, v3
	v_and_or_b32 v3, v6, s10, v5
	v_cmp_ne_u32_e32 vcc, 0, v3
	v_cndmask_b32_e64 v3, 0, 1, vcc
	v_lshrrev_b32_e32 v4, 8, v6
	v_bfe_u32 v5, v6, 20, 11
	v_and_or_b32 v3, v4, s11, v3
	v_sub_u32_e32 v8, 0x3f1, v5
	v_or_b32_e32 v4, 0x1000, v3
	v_med3_i32 v8, v8, 0, 13
	v_lshrrev_b32_e32 v10, v8, v4
	v_lshlrev_b32_e32 v8, v8, v10
	v_cmp_ne_u32_e32 vcc, v8, v4
	v_cndmask_b32_e64 v4, 0, 1, vcc
	v_add_u32_e32 v5, 0xfffffc10, v5
	v_or_b32_e32 v4, v10, v4
	v_lshl_or_b32 v8, v5, 12, v3
	v_cmp_gt_i32_e32 vcc, 1, v5
	v_cndmask_b32_e32 v4, v8, v4, vcc
	v_and_b32_e32 v8, 7, v4
	v_cmp_lt_i32_e32 vcc, 5, v8
	v_cmp_eq_u32_e64 s[0:1], 3, v8
	ds_read_b32 v8, v28 offset:1320
	v_lshrrev_b32_e32 v4, 2, v4
	s_or_b64 vcc, s[0:1], vcc
	v_addc_co_u32_e32 v4, vcc, 0, v4, vcc
	v_cmp_gt_i32_e32 vcc, 31, v5
	s_waitcnt lgkmcnt(0)
	v_lshrrev_b32_e32 v11, 16, v8
	v_cndmask_b32_e32 v10, v2, v4, vcc
	s_waitcnt vmcnt(3)
	v_mul_f16_sdwa v4, v11, v16 dst_sel:DWORD dst_unused:UNUSED_PAD src0_sel:DWORD src1_sel:WORD_1
	v_fma_f16 v4, v8, v16, v4
	v_cvt_f32_f16_e32 v4, v4
	v_cmp_ne_u32_e32 vcc, 0, v3
	v_cndmask_b32_e64 v3, 0, 1, vcc
	v_lshl_or_b32 v12, v3, 9, v2
	v_cvt_f64_f32_e32 v[3:4], v4
	v_cmp_eq_u32_e32 vcc, s14, v5
	v_cndmask_b32_e32 v5, v10, v12, vcc
	v_lshrrev_b32_e32 v6, 16, v6
	v_mul_f64 v[3:4], v[3:4], s[12:13]
	v_add_co_u32_e32 v0, vcc, s6, v0
	v_and_or_b32 v5, v6, s15, v5
	v_and_b32_e32 v6, 0xffff, v7
	v_addc_co_u32_e32 v1, vcc, v1, v9, vcc
	v_lshl_or_b32 v5, v5, 16, v6
	v_and_or_b32 v3, v4, s10, v3
	v_cmp_ne_u32_e32 vcc, 0, v3
	global_store_dword v[0:1], v5, off
	v_cndmask_b32_e64 v3, 0, 1, vcc
	v_lshrrev_b32_e32 v5, 8, v4
	v_bfe_u32 v6, v4, 20, 11
	v_and_or_b32 v3, v5, s11, v3
	v_sub_u32_e32 v7, 0x3f1, v6
	v_or_b32_e32 v5, 0x1000, v3
	v_med3_i32 v7, v7, 0, 13
	v_lshrrev_b32_e32 v10, v7, v5
	v_lshlrev_b32_e32 v7, v7, v10
	v_mul_f16_sdwa v8, v8, v16 dst_sel:DWORD dst_unused:UNUSED_PAD src0_sel:DWORD src1_sel:WORD_1
	v_cmp_ne_u32_e32 vcc, v7, v5
	v_fma_f16 v8, v16, v11, -v8
	v_cndmask_b32_e64 v5, 0, 1, vcc
	v_add_u32_e32 v7, 0xfffffc10, v6
	v_cvt_f32_f16_e32 v8, v8
	v_or_b32_e32 v5, v10, v5
	v_lshl_or_b32 v6, v7, 12, v3
	v_cmp_gt_i32_e32 vcc, 1, v7
	v_cndmask_b32_e32 v5, v6, v5, vcc
	v_and_b32_e32 v6, 7, v5
	v_cmp_lt_i32_e32 vcc, 5, v6
	v_cmp_eq_u32_e64 s[0:1], 3, v6
	v_lshrrev_b32_e32 v10, 2, v5
	v_cvt_f64_f32_e32 v[5:6], v8
	s_or_b64 vcc, s[0:1], vcc
	v_addc_co_u32_e32 v8, vcc, 0, v10, vcc
	v_mul_f64 v[5:6], v[5:6], s[12:13]
	v_cmp_gt_i32_e32 vcc, 31, v7
	v_cndmask_b32_e32 v8, v2, v8, vcc
	v_cmp_ne_u32_e32 vcc, 0, v3
	v_cndmask_b32_e64 v3, 0, 1, vcc
	v_lshl_or_b32 v3, v3, 9, v2
	v_cmp_eq_u32_e32 vcc, s14, v7
	v_cndmask_b32_e32 v3, v8, v3, vcc
	v_lshrrev_b32_e32 v4, 16, v4
	v_and_or_b32 v3, v4, s15, v3
	v_and_or_b32 v4, v6, s10, v5
	v_cmp_ne_u32_e32 vcc, 0, v4
	v_cndmask_b32_e64 v4, 0, 1, vcc
	v_lshrrev_b32_e32 v5, 8, v6
	v_bfe_u32 v7, v6, 20, 11
	v_and_or_b32 v4, v5, s11, v4
	v_sub_u32_e32 v8, 0x3f1, v7
	v_or_b32_e32 v5, 0x1000, v4
	v_med3_i32 v8, v8, 0, 13
	v_lshrrev_b32_e32 v10, v8, v5
	v_lshlrev_b32_e32 v8, v8, v10
	v_cmp_ne_u32_e32 vcc, v8, v5
	v_cndmask_b32_e64 v5, 0, 1, vcc
	v_add_u32_e32 v7, 0xfffffc10, v7
	v_or_b32_e32 v5, v10, v5
	v_lshl_or_b32 v8, v7, 12, v4
	v_cmp_gt_i32_e32 vcc, 1, v7
	v_cndmask_b32_e32 v5, v8, v5, vcc
	v_and_b32_e32 v8, 7, v5
	v_cmp_lt_i32_e32 vcc, 5, v8
	v_cmp_eq_u32_e64 s[0:1], 3, v8
	v_lshrrev_b32_e32 v5, 2, v5
	s_or_b64 vcc, s[0:1], vcc
	v_addc_co_u32_e32 v5, vcc, 0, v5, vcc
	v_cmp_gt_i32_e32 vcc, 31, v7
	v_cndmask_b32_e32 v5, v2, v5, vcc
	v_cmp_ne_u32_e32 vcc, 0, v4
	v_cndmask_b32_e64 v4, 0, 1, vcc
	v_lshl_or_b32 v2, v4, 9, v2
	v_cmp_eq_u32_e32 vcc, s14, v7
	v_cndmask_b32_e32 v2, v5, v2, vcc
	v_lshrrev_b32_e32 v4, 16, v6
	v_and_or_b32 v2, v4, s15, v2
	v_and_b32_e32 v3, 0xffff, v3
	v_add_co_u32_e32 v0, vcc, s6, v0
	v_lshl_or_b32 v2, v2, 16, v3
	v_addc_co_u32_e32 v1, vcc, v1, v9, vcc
	global_store_dword v[0:1], v2, off
.LBB0_23:
	s_endpgm
	.section	.rodata,"a",@progbits
	.p2align	6, 0x0
	.amdhsa_kernel bluestein_single_fwd_len350_dim1_half_op_CI_CI
		.amdhsa_group_segment_fixed_size 1400
		.amdhsa_private_segment_fixed_size 0
		.amdhsa_kernarg_size 104
		.amdhsa_user_sgpr_count 6
		.amdhsa_user_sgpr_private_segment_buffer 1
		.amdhsa_user_sgpr_dispatch_ptr 0
		.amdhsa_user_sgpr_queue_ptr 0
		.amdhsa_user_sgpr_kernarg_segment_ptr 1
		.amdhsa_user_sgpr_dispatch_id 0
		.amdhsa_user_sgpr_flat_scratch_init 0
		.amdhsa_user_sgpr_private_segment_size 0
		.amdhsa_uses_dynamic_stack 0
		.amdhsa_system_sgpr_private_segment_wavefront_offset 0
		.amdhsa_system_sgpr_workgroup_id_x 1
		.amdhsa_system_sgpr_workgroup_id_y 0
		.amdhsa_system_sgpr_workgroup_id_z 0
		.amdhsa_system_sgpr_workgroup_info 0
		.amdhsa_system_vgpr_workitem_id 0
		.amdhsa_next_free_vgpr 66
		.amdhsa_next_free_sgpr 18
		.amdhsa_reserve_vcc 1
		.amdhsa_reserve_flat_scratch 0
		.amdhsa_float_round_mode_32 0
		.amdhsa_float_round_mode_16_64 0
		.amdhsa_float_denorm_mode_32 3
		.amdhsa_float_denorm_mode_16_64 3
		.amdhsa_dx10_clamp 1
		.amdhsa_ieee_mode 1
		.amdhsa_fp16_overflow 0
		.amdhsa_exception_fp_ieee_invalid_op 0
		.amdhsa_exception_fp_denorm_src 0
		.amdhsa_exception_fp_ieee_div_zero 0
		.amdhsa_exception_fp_ieee_overflow 0
		.amdhsa_exception_fp_ieee_underflow 0
		.amdhsa_exception_fp_ieee_inexact 0
		.amdhsa_exception_int_div_zero 0
	.end_amdhsa_kernel
	.text
.Lfunc_end0:
	.size	bluestein_single_fwd_len350_dim1_half_op_CI_CI, .Lfunc_end0-bluestein_single_fwd_len350_dim1_half_op_CI_CI
                                        ; -- End function
	.section	.AMDGPU.csdata,"",@progbits
; Kernel info:
; codeLenInByte = 14004
; NumSgprs: 22
; NumVgprs: 66
; ScratchSize: 0
; MemoryBound: 0
; FloatMode: 240
; IeeeMode: 1
; LDSByteSize: 1400 bytes/workgroup (compile time only)
; SGPRBlocks: 2
; VGPRBlocks: 16
; NumSGPRsForWavesPerEU: 22
; NumVGPRsForWavesPerEU: 66
; Occupancy: 3
; WaveLimiterHint : 1
; COMPUTE_PGM_RSRC2:SCRATCH_EN: 0
; COMPUTE_PGM_RSRC2:USER_SGPR: 6
; COMPUTE_PGM_RSRC2:TRAP_HANDLER: 0
; COMPUTE_PGM_RSRC2:TGID_X_EN: 1
; COMPUTE_PGM_RSRC2:TGID_Y_EN: 0
; COMPUTE_PGM_RSRC2:TGID_Z_EN: 0
; COMPUTE_PGM_RSRC2:TIDIG_COMP_CNT: 0
	.type	__hip_cuid_bd4c331c8093fbd6,@object ; @__hip_cuid_bd4c331c8093fbd6
	.section	.bss,"aw",@nobits
	.globl	__hip_cuid_bd4c331c8093fbd6
__hip_cuid_bd4c331c8093fbd6:
	.byte	0                               ; 0x0
	.size	__hip_cuid_bd4c331c8093fbd6, 1

	.ident	"AMD clang version 19.0.0git (https://github.com/RadeonOpenCompute/llvm-project roc-6.4.0 25133 c7fe45cf4b819c5991fe208aaa96edf142730f1d)"
	.section	".note.GNU-stack","",@progbits
	.addrsig
	.addrsig_sym __hip_cuid_bd4c331c8093fbd6
	.amdgpu_metadata
---
amdhsa.kernels:
  - .args:
      - .actual_access:  read_only
        .address_space:  global
        .offset:         0
        .size:           8
        .value_kind:     global_buffer
      - .actual_access:  read_only
        .address_space:  global
        .offset:         8
        .size:           8
        .value_kind:     global_buffer
      - .actual_access:  read_only
        .address_space:  global
        .offset:         16
        .size:           8
        .value_kind:     global_buffer
      - .actual_access:  read_only
        .address_space:  global
        .offset:         24
        .size:           8
        .value_kind:     global_buffer
      - .actual_access:  read_only
        .address_space:  global
        .offset:         32
        .size:           8
        .value_kind:     global_buffer
      - .offset:         40
        .size:           8
        .value_kind:     by_value
      - .address_space:  global
        .offset:         48
        .size:           8
        .value_kind:     global_buffer
      - .address_space:  global
        .offset:         56
        .size:           8
        .value_kind:     global_buffer
      - .address_space:  global
        .offset:         64
        .size:           8
        .value_kind:     global_buffer
      - .address_space:  global
        .offset:         72
        .size:           8
        .value_kind:     global_buffer
      - .offset:         80
        .size:           4
        .value_kind:     by_value
      - .address_space:  global
        .offset:         88
        .size:           8
        .value_kind:     global_buffer
      - .address_space:  global
        .offset:         96
        .size:           8
        .value_kind:     global_buffer
    .group_segment_fixed_size: 1400
    .kernarg_segment_align: 8
    .kernarg_segment_size: 104
    .language:       OpenCL C
    .language_version:
      - 2
      - 0
    .max_flat_workgroup_size: 50
    .name:           bluestein_single_fwd_len350_dim1_half_op_CI_CI
    .private_segment_fixed_size: 0
    .sgpr_count:     22
    .sgpr_spill_count: 0
    .symbol:         bluestein_single_fwd_len350_dim1_half_op_CI_CI.kd
    .uniform_work_group_size: 1
    .uses_dynamic_stack: false
    .vgpr_count:     66
    .vgpr_spill_count: 0
    .wavefront_size: 64
amdhsa.target:   amdgcn-amd-amdhsa--gfx906
amdhsa.version:
  - 1
  - 2
...

	.end_amdgpu_metadata
